;; amdgpu-corpus repo=ROCm/rocFFT kind=compiled arch=gfx906 opt=O3
	.text
	.amdgcn_target "amdgcn-amd-amdhsa--gfx906"
	.amdhsa_code_object_version 6
	.protected	fft_rtc_fwd_len1575_factors_3_3_5_7_5_wgs_63_tpt_63_halfLds_dp_op_CI_CI_unitstride_sbrr_dirReg ; -- Begin function fft_rtc_fwd_len1575_factors_3_3_5_7_5_wgs_63_tpt_63_halfLds_dp_op_CI_CI_unitstride_sbrr_dirReg
	.globl	fft_rtc_fwd_len1575_factors_3_3_5_7_5_wgs_63_tpt_63_halfLds_dp_op_CI_CI_unitstride_sbrr_dirReg
	.p2align	8
	.type	fft_rtc_fwd_len1575_factors_3_3_5_7_5_wgs_63_tpt_63_halfLds_dp_op_CI_CI_unitstride_sbrr_dirReg,@function
fft_rtc_fwd_len1575_factors_3_3_5_7_5_wgs_63_tpt_63_halfLds_dp_op_CI_CI_unitstride_sbrr_dirReg: ; @fft_rtc_fwd_len1575_factors_3_3_5_7_5_wgs_63_tpt_63_halfLds_dp_op_CI_CI_unitstride_sbrr_dirReg
; %bb.0:
	s_load_dwordx4 s[8:11], s[4:5], 0x58
	s_load_dwordx4 s[12:15], s[4:5], 0x0
	;; [unrolled: 1-line block ×3, first 2 shown]
	v_mul_u32_u24_e32 v1, 0x411, v0
	v_add_u32_sdwa v6, s6, v1 dst_sel:DWORD dst_unused:UNUSED_PAD src0_sel:DWORD src1_sel:WORD_1
	v_mov_b32_e32 v1, 0
	s_waitcnt lgkmcnt(0)
	v_cmp_lt_u64_e64 s[0:1], s[14:15], 2
	v_mov_b32_e32 v4, 0
	v_mov_b32_e32 v7, v1
	s_and_b64 vcc, exec, s[0:1]
	v_mov_b32_e32 v5, 0
	s_cbranch_vccnz .LBB0_8
; %bb.1:
	s_load_dwordx2 s[0:1], s[4:5], 0x10
	s_add_u32 s2, s18, 8
	s_addc_u32 s3, s19, 0
	s_add_u32 s6, s16, 8
	v_mov_b32_e32 v4, 0
	s_addc_u32 s7, s17, 0
	v_mov_b32_e32 v5, 0
	s_waitcnt lgkmcnt(0)
	s_add_u32 s20, s0, 8
	v_mov_b32_e32 v151, v5
	s_addc_u32 s21, s1, 0
	s_mov_b64 s[22:23], 1
	v_mov_b32_e32 v150, v4
.LBB0_2:                                ; =>This Inner Loop Header: Depth=1
	s_load_dwordx2 s[24:25], s[20:21], 0x0
                                        ; implicit-def: $vgpr152_vgpr153
	s_waitcnt lgkmcnt(0)
	v_or_b32_e32 v2, s25, v7
	v_cmp_ne_u64_e32 vcc, 0, v[1:2]
	s_and_saveexec_b64 s[0:1], vcc
	s_xor_b64 s[26:27], exec, s[0:1]
	s_cbranch_execz .LBB0_4
; %bb.3:                                ;   in Loop: Header=BB0_2 Depth=1
	v_cvt_f32_u32_e32 v2, s24
	v_cvt_f32_u32_e32 v3, s25
	s_sub_u32 s0, 0, s24
	s_subb_u32 s1, 0, s25
	v_mac_f32_e32 v2, 0x4f800000, v3
	v_rcp_f32_e32 v2, v2
	v_mul_f32_e32 v2, 0x5f7ffffc, v2
	v_mul_f32_e32 v3, 0x2f800000, v2
	v_trunc_f32_e32 v3, v3
	v_mac_f32_e32 v2, 0xcf800000, v3
	v_cvt_u32_f32_e32 v3, v3
	v_cvt_u32_f32_e32 v2, v2
	v_mul_lo_u32 v8, s0, v3
	v_mul_hi_u32 v9, s0, v2
	v_mul_lo_u32 v11, s1, v2
	v_mul_lo_u32 v10, s0, v2
	v_add_u32_e32 v8, v9, v8
	v_add_u32_e32 v8, v8, v11
	v_mul_hi_u32 v9, v2, v10
	v_mul_lo_u32 v11, v2, v8
	v_mul_hi_u32 v13, v2, v8
	v_mul_hi_u32 v12, v3, v10
	v_mul_lo_u32 v10, v3, v10
	v_mul_hi_u32 v14, v3, v8
	v_add_co_u32_e32 v9, vcc, v9, v11
	v_addc_co_u32_e32 v11, vcc, 0, v13, vcc
	v_mul_lo_u32 v8, v3, v8
	v_add_co_u32_e32 v9, vcc, v9, v10
	v_addc_co_u32_e32 v9, vcc, v11, v12, vcc
	v_addc_co_u32_e32 v10, vcc, 0, v14, vcc
	v_add_co_u32_e32 v8, vcc, v9, v8
	v_addc_co_u32_e32 v9, vcc, 0, v10, vcc
	v_add_co_u32_e32 v2, vcc, v2, v8
	v_addc_co_u32_e32 v3, vcc, v3, v9, vcc
	v_mul_lo_u32 v8, s0, v3
	v_mul_hi_u32 v9, s0, v2
	v_mul_lo_u32 v10, s1, v2
	v_mul_lo_u32 v11, s0, v2
	v_add_u32_e32 v8, v9, v8
	v_add_u32_e32 v8, v8, v10
	v_mul_lo_u32 v12, v2, v8
	v_mul_hi_u32 v13, v2, v11
	v_mul_hi_u32 v14, v2, v8
	v_mul_hi_u32 v10, v3, v11
	v_mul_lo_u32 v11, v3, v11
	v_mul_hi_u32 v9, v3, v8
	v_add_co_u32_e32 v12, vcc, v13, v12
	v_addc_co_u32_e32 v13, vcc, 0, v14, vcc
	v_mul_lo_u32 v8, v3, v8
	v_add_co_u32_e32 v11, vcc, v12, v11
	v_addc_co_u32_e32 v10, vcc, v13, v10, vcc
	v_addc_co_u32_e32 v9, vcc, 0, v9, vcc
	v_add_co_u32_e32 v8, vcc, v10, v8
	v_addc_co_u32_e32 v9, vcc, 0, v9, vcc
	v_add_co_u32_e32 v8, vcc, v2, v8
	v_addc_co_u32_e32 v9, vcc, v3, v9, vcc
	v_mad_u64_u32 v[2:3], s[0:1], v6, v9, 0
	v_mul_hi_u32 v10, v6, v8
	v_add_co_u32_e32 v10, vcc, v10, v2
	v_addc_co_u32_e32 v11, vcc, 0, v3, vcc
	v_mad_u64_u32 v[2:3], s[0:1], v7, v8, 0
	v_mad_u64_u32 v[8:9], s[0:1], v7, v9, 0
	v_add_co_u32_e32 v2, vcc, v10, v2
	v_addc_co_u32_e32 v2, vcc, v11, v3, vcc
	v_addc_co_u32_e32 v3, vcc, 0, v9, vcc
	v_add_co_u32_e32 v8, vcc, v2, v8
	v_addc_co_u32_e32 v9, vcc, 0, v3, vcc
	v_mul_lo_u32 v10, s25, v8
	v_mul_lo_u32 v11, s24, v9
	v_mad_u64_u32 v[2:3], s[0:1], s24, v8, 0
	v_add3_u32 v3, v3, v11, v10
	v_sub_u32_e32 v10, v7, v3
	v_mov_b32_e32 v11, s25
	v_sub_co_u32_e32 v2, vcc, v6, v2
	v_subb_co_u32_e64 v10, s[0:1], v10, v11, vcc
	v_subrev_co_u32_e64 v11, s[0:1], s24, v2
	v_subbrev_co_u32_e64 v10, s[0:1], 0, v10, s[0:1]
	v_cmp_le_u32_e64 s[0:1], s25, v10
	v_cndmask_b32_e64 v12, 0, -1, s[0:1]
	v_cmp_le_u32_e64 s[0:1], s24, v11
	v_cndmask_b32_e64 v11, 0, -1, s[0:1]
	v_cmp_eq_u32_e64 s[0:1], s25, v10
	v_cndmask_b32_e64 v10, v12, v11, s[0:1]
	v_add_co_u32_e64 v11, s[0:1], 2, v8
	v_addc_co_u32_e64 v12, s[0:1], 0, v9, s[0:1]
	v_add_co_u32_e64 v13, s[0:1], 1, v8
	v_addc_co_u32_e64 v14, s[0:1], 0, v9, s[0:1]
	v_subb_co_u32_e32 v3, vcc, v7, v3, vcc
	v_cmp_ne_u32_e64 s[0:1], 0, v10
	v_cmp_le_u32_e32 vcc, s25, v3
	v_cndmask_b32_e64 v10, v14, v12, s[0:1]
	v_cndmask_b32_e64 v12, 0, -1, vcc
	v_cmp_le_u32_e32 vcc, s24, v2
	v_cndmask_b32_e64 v2, 0, -1, vcc
	v_cmp_eq_u32_e32 vcc, s25, v3
	v_cndmask_b32_e32 v2, v12, v2, vcc
	v_cmp_ne_u32_e32 vcc, 0, v2
	v_cndmask_b32_e64 v2, v13, v11, s[0:1]
	v_cndmask_b32_e32 v153, v9, v10, vcc
	v_cndmask_b32_e32 v152, v8, v2, vcc
.LBB0_4:                                ;   in Loop: Header=BB0_2 Depth=1
	s_andn2_saveexec_b64 s[0:1], s[26:27]
	s_cbranch_execz .LBB0_6
; %bb.5:                                ;   in Loop: Header=BB0_2 Depth=1
	v_cvt_f32_u32_e32 v2, s24
	s_sub_i32 s26, 0, s24
	v_mov_b32_e32 v153, v1
	v_rcp_iflag_f32_e32 v2, v2
	v_mul_f32_e32 v2, 0x4f7ffffe, v2
	v_cvt_u32_f32_e32 v2, v2
	v_mul_lo_u32 v3, s26, v2
	v_mul_hi_u32 v3, v2, v3
	v_add_u32_e32 v2, v2, v3
	v_mul_hi_u32 v2, v6, v2
	v_mul_lo_u32 v3, v2, s24
	v_add_u32_e32 v8, 1, v2
	v_sub_u32_e32 v3, v6, v3
	v_subrev_u32_e32 v9, s24, v3
	v_cmp_le_u32_e32 vcc, s24, v3
	v_cndmask_b32_e32 v3, v3, v9, vcc
	v_cndmask_b32_e32 v2, v2, v8, vcc
	v_add_u32_e32 v8, 1, v2
	v_cmp_le_u32_e32 vcc, s24, v3
	v_cndmask_b32_e32 v152, v2, v8, vcc
.LBB0_6:                                ;   in Loop: Header=BB0_2 Depth=1
	s_or_b64 exec, exec, s[0:1]
	v_mul_lo_u32 v8, v153, s24
	v_mul_lo_u32 v9, v152, s25
	v_mad_u64_u32 v[2:3], s[0:1], v152, s24, 0
	s_load_dwordx2 s[0:1], s[6:7], 0x0
	s_load_dwordx2 s[24:25], s[2:3], 0x0
	v_add3_u32 v3, v3, v9, v8
	v_sub_co_u32_e32 v2, vcc, v6, v2
	v_subb_co_u32_e32 v3, vcc, v7, v3, vcc
	s_waitcnt lgkmcnt(0)
	v_mul_lo_u32 v6, s0, v3
	v_mul_lo_u32 v7, s1, v2
	v_mad_u64_u32 v[4:5], s[0:1], s0, v2, v[4:5]
	v_mul_lo_u32 v3, s24, v3
	v_mul_lo_u32 v8, s25, v2
	v_mad_u64_u32 v[150:151], s[0:1], s24, v2, v[150:151]
	s_add_u32 s22, s22, 1
	s_addc_u32 s23, s23, 0
	s_add_u32 s2, s2, 8
	v_add3_u32 v151, v8, v151, v3
	s_addc_u32 s3, s3, 0
	v_mov_b32_e32 v2, s14
	s_add_u32 s6, s6, 8
	v_mov_b32_e32 v3, s15
	s_addc_u32 s7, s7, 0
	v_cmp_ge_u64_e32 vcc, s[22:23], v[2:3]
	s_add_u32 s20, s20, 8
	v_add3_u32 v5, v7, v5, v6
	s_addc_u32 s21, s21, 0
	s_cbranch_vccnz .LBB0_9
; %bb.7:                                ;   in Loop: Header=BB0_2 Depth=1
	v_mov_b32_e32 v6, v152
	v_mov_b32_e32 v7, v153
	s_branch .LBB0_2
.LBB0_8:
	v_mov_b32_e32 v151, v5
	v_mov_b32_e32 v153, v7
	;; [unrolled: 1-line block ×4, first 2 shown]
.LBB0_9:
	s_load_dwordx2 s[2:3], s[4:5], 0x28
	s_lshl_b64 s[6:7], s[14:15], 3
	s_add_u32 s4, s18, s6
	s_addc_u32 s5, s19, s7
                                        ; implicit-def: $vgpr154
	s_waitcnt lgkmcnt(0)
	v_cmp_gt_u64_e64 s[0:1], s[2:3], v[152:153]
	v_cmp_le_u64_e32 vcc, s[2:3], v[152:153]
	s_and_saveexec_b64 s[2:3], vcc
	s_xor_b64 s[2:3], exec, s[2:3]
; %bb.10:
	s_mov_b32 s14, 0x4104105
	v_mul_hi_u32 v1, v0, s14
                                        ; implicit-def: $vgpr4_vgpr5
	v_mul_u32_u24_e32 v1, 63, v1
	v_sub_u32_e32 v154, v0, v1
                                        ; implicit-def: $vgpr0
; %bb.11:
	s_or_saveexec_b64 s[2:3], s[2:3]
	s_load_dwordx2 s[4:5], s[4:5], 0x0
                                        ; implicit-def: $vgpr82_vgpr83
                                        ; implicit-def: $vgpr66_vgpr67
                                        ; implicit-def: $vgpr58_vgpr59
                                        ; implicit-def: $vgpr30_vgpr31
                                        ; implicit-def: $vgpr34_vgpr35
                                        ; implicit-def: $vgpr6_vgpr7
                                        ; implicit-def: $vgpr38_vgpr39
                                        ; implicit-def: $vgpr50_vgpr51
                                        ; implicit-def: $vgpr2_vgpr3
                                        ; implicit-def: $vgpr62_vgpr63
                                        ; implicit-def: $vgpr74_vgpr75
                                        ; implicit-def: $vgpr86_vgpr87
                                        ; implicit-def: $vgpr78_vgpr79
                                        ; implicit-def: $vgpr18_vgpr19
                                        ; implicit-def: $vgpr92_vgpr93
                                        ; implicit-def: $vgpr14_vgpr15
                                        ; implicit-def: $vgpr10_vgpr11
                                        ; implicit-def: $vgpr98_vgpr99
                                        ; implicit-def: $vgpr26_vgpr27
                                        ; implicit-def: $vgpr22_vgpr23
                                        ; implicit-def: $vgpr104_vgpr105
                                        ; implicit-def: $vgpr46_vgpr47
                                        ; implicit-def: $vgpr42_vgpr43
                                        ; implicit-def: $vgpr108_vgpr109
                                        ; implicit-def: $vgpr54_vgpr55
                                        ; implicit-def: $vgpr120_vgpr121
                                        ; implicit-def: $vgpr112_vgpr113
	s_xor_b64 exec, exec, s[2:3]
	s_cbranch_execz .LBB0_15
; %bb.12:
	s_add_u32 s6, s16, s6
	s_addc_u32 s7, s17, s7
	s_load_dwordx2 s[6:7], s[6:7], 0x0
	s_mov_b32 s14, 0x4104105
	v_mul_hi_u32 v3, v0, s14
                                        ; implicit-def: $vgpr80_vgpr81
	s_waitcnt lgkmcnt(0)
	v_mul_lo_u32 v6, s7, v152
	v_mul_lo_u32 v7, s6, v153
	v_mad_u64_u32 v[1:2], s[6:7], s6, v152, 0
	v_mul_u32_u24_e32 v3, 63, v3
	v_sub_u32_e32 v154, v0, v3
	v_add3_u32 v2, v2, v7, v6
	v_lshlrev_b64 v[0:1], 4, v[1:2]
	v_mov_b32_e32 v2, s9
	v_add_co_u32_e32 v3, vcc, s8, v0
	v_addc_co_u32_e32 v2, vcc, v2, v1, vcc
	v_lshlrev_b64 v[0:1], 4, v[4:5]
	s_movk_i32 s6, 0x2000
	v_add_co_u32_e32 v0, vcc, v3, v0
	v_addc_co_u32_e32 v1, vcc, v2, v1, vcc
	v_lshlrev_b32_e32 v2, 4, v154
	v_add_co_u32_e32 v68, vcc, v0, v2
	v_addc_co_u32_e32 v69, vcc, 0, v1, vcc
	v_add_co_u32_e32 v56, vcc, s6, v68
	v_addc_co_u32_e32 v57, vcc, 0, v69, vcc
	s_movk_i32 s6, 0x4000
	v_add_co_u32_e32 v0, vcc, s6, v68
	v_addc_co_u32_e32 v1, vcc, 0, v69, vcc
	s_movk_i32 s6, 0x3000
	v_add_co_u32_e32 v58, vcc, s6, v68
	v_addc_co_u32_e32 v59, vcc, 0, v69, vcc
	s_movk_i32 s6, 0x5000
	v_add_co_u32_e32 v64, vcc, s6, v68
	v_addc_co_u32_e32 v65, vcc, 0, v69, vcc
	s_movk_i32 s6, 0x1000
	v_add_co_u32_e32 v66, vcc, s6, v68
	v_addc_co_u32_e32 v67, vcc, 0, v69, vcc
	global_load_dwordx4 v[40:43], v[56:57], off offset:1216
	global_load_dwordx4 v[20:23], v[56:57], off offset:2224
	;; [unrolled: 1-line block ×8, first 2 shown]
	s_nop 0
	global_load_dwordx4 v[0:3], v[66:67], off offset:1952
	global_load_dwordx4 v[4:7], v[66:67], off offset:2960
	;; [unrolled: 1-line block ×10, first 2 shown]
	global_load_dwordx4 v[110:113], v[68:69], off
	global_load_dwordx4 v[106:109], v[68:69], off offset:1008
	global_load_dwordx4 v[102:105], v[68:69], off offset:2016
	;; [unrolled: 1-line block ×4, first 2 shown]
                                        ; kill: killed $vgpr56 killed $vgpr57
                                        ; kill: killed $vgpr66 killed $vgpr67
                                        ; kill: killed $vgpr64 killed $vgpr65
                                        ; kill: killed $vgpr58 killed $vgpr59
	global_load_dwordx4 v[90:93], v[68:69], off offset:4032
	v_cmp_gt_u32_e32 vcc, 21, v154
                                        ; implicit-def: $vgpr56_vgpr57
                                        ; implicit-def: $vgpr64_vgpr65
	s_and_saveexec_b64 s[6:7], vcc
	s_cbranch_execz .LBB0_14
; %bb.13:
	v_add_co_u32_e32 v70, vcc, 0x1000, v68
	v_addc_co_u32_e32 v71, vcc, 0, v69, vcc
	v_add_co_u32_e32 v80, vcc, 0x4000, v68
	v_addc_co_u32_e32 v81, vcc, 0, v69, vcc
	;; [unrolled: 2-line block ×3, first 2 shown]
	global_load_dwordx4 v[56:59], v[70:71], off offset:3968
	global_load_dwordx4 v[64:67], v[80:81], off offset:80
	s_nop 0
	global_load_dwordx4 v[80:83], v[68:69], off offset:288
.LBB0_14:
	s_or_b64 exec, exec, s[6:7]
.LBB0_15:
	s_or_b64 exec, exec, s[2:3]
	s_waitcnt vmcnt(20)
	v_add_f64 v[68:69], v[24:25], v[20:21]
	v_add_f64 v[114:115], v[44:45], v[40:41]
	s_waitcnt vmcnt(1)
	v_add_f64 v[70:71], v[52:53], v[118:119]
	v_add_f64 v[88:89], v[20:21], v[102:103]
	v_add_f64 v[94:95], v[22:23], -v[26:27]
	v_add_f64 v[122:123], v[42:43], -v[46:47]
	v_add_f64 v[100:101], v[118:119], v[110:111]
	v_add_f64 v[116:117], v[120:121], -v[54:55]
	v_fma_f64 v[68:69], v[68:69], -0.5, v[102:103]
	v_add_f64 v[102:103], v[40:41], v[106:107]
	v_fma_f64 v[106:107], v[114:115], -0.5, v[106:107]
	v_fma_f64 v[70:71], v[70:71], -0.5, v[110:111]
	s_mov_b32 s2, 0xe8584caa
	s_mov_b32 s3, 0x3febb67a
	v_add_f64 v[88:89], v[24:25], v[88:89]
	v_add_f64 v[126:127], v[12:13], v[8:9]
	v_fma_f64 v[114:115], v[94:95], s[2:3], v[68:69]
	v_add_f64 v[102:103], v[44:45], v[102:103]
	v_fma_f64 v[128:129], v[122:123], s[2:3], v[106:107]
	;; [unrolled: 2-line block ×3, first 2 shown]
	v_mad_u32_u24 v110, v154, 24, 0
	v_add_u32_e32 v111, 0xbd0, v110
	s_mov_b32 s7, 0xbfebb67a
	ds_write2_b64 v111, v[88:89], v[114:115] offset1:1
	ds_write2_b64 v110, v[100:101], v[124:125] offset1:1
	v_fma_f64 v[88:89], v[126:127], -0.5, v[96:97]
	v_add_f64 v[100:101], v[10:11], -v[14:15]
	v_add_f64 v[96:97], v[8:9], v[96:97]
	ds_write2_b64 v110, v[102:103], v[128:129] offset0:189 offset1:190
	v_add_f64 v[102:103], v[76:77], v[16:17]
	s_mov_b32 s6, s2
	v_fma_f64 v[70:71], v[116:117], s[6:7], v[70:71]
	v_fma_f64 v[106:107], v[122:123], s[6:7], v[106:107]
	s_waitcnt vmcnt(0)
	v_add_f64 v[116:117], v[16:17], v[90:91]
	v_fma_f64 v[114:115], v[100:101], s[2:3], v[88:89]
	v_add_f64 v[96:97], v[12:13], v[96:97]
	v_fma_f64 v[68:69], v[94:95], s[6:7], v[68:69]
	v_fma_f64 v[90:91], v[102:103], -0.5, v[90:91]
	v_add_f64 v[102:103], v[18:19], -v[78:79]
	v_add_f64 v[94:95], v[60:61], v[72:73]
	v_fma_f64 v[88:89], v[100:101], s[6:7], v[88:89]
	v_add_u32_e32 v111, 0x11b8, v110
	ds_write2_b64 v110, v[70:71], v[106:107] offset0:2 offset1:191
	ds_write2_b64 v111, v[96:97], v[114:115] offset1:1
	v_add_f64 v[70:71], v[76:77], v[116:117]
	v_add_f64 v[100:101], v[72:73], v[84:85]
	v_fma_f64 v[96:97], v[102:103], s[2:3], v[90:91]
	v_add_u32_e32 v106, 0xa00, v110
	v_fma_f64 v[84:85], v[94:95], -0.5, v[84:85]
	v_add_f64 v[94:95], v[74:75], -v[62:63]
	ds_write2_b64 v106, v[68:69], v[88:89] offset0:60 offset1:249
	v_add_f64 v[68:69], v[36:37], v[48:49]
	v_add_u32_e32 v88, 0x17a0, v110
	v_cmp_gt_u32_e32 vcc, 21, v154
	ds_write2_b64 v88, v[70:71], v[96:97] offset1:1
	v_fma_f64 v[70:71], v[102:103], s[6:7], v[90:91]
	v_add_f64 v[88:89], v[60:61], v[100:101]
	v_fma_f64 v[90:91], v[94:95], s[2:3], v[84:85]
	v_fma_f64 v[84:85], v[94:95], s[6:7], v[84:85]
	v_add_f64 v[94:95], v[48:49], v[0:1]
	v_add_f64 v[96:97], v[28:29], v[32:33]
	v_fma_f64 v[0:1], v[68:69], -0.5, v[0:1]
	v_add_f64 v[68:69], v[80:81], v[64:65]
	v_add_u32_e32 v100, 0x1600, v110
	ds_write2_b64 v100, v[70:71], v[88:89] offset0:54 offset1:241
	v_add_f64 v[70:71], v[50:51], -v[38:39]
	v_add_u32_e32 v88, 0x1d90, v110
	ds_write2_b64 v88, v[90:91], v[84:85] offset1:1
	v_fma_f64 v[84:85], v[96:97], -0.5, v[4:5]
	v_add_f64 v[88:89], v[34:35], -v[30:31]
	v_add_f64 v[4:5], v[32:33], v[4:5]
	v_fma_f64 v[68:69], v[68:69], -0.5, v[56:57]
	v_add_f64 v[90:91], v[66:67], -v[82:83]
	v_add_f64 v[56:57], v[64:65], v[56:57]
	v_add_f64 v[94:95], v[36:37], v[94:95]
	v_fma_f64 v[96:97], v[70:71], s[2:3], v[0:1]
	v_fma_f64 v[0:1], v[70:71], s[6:7], v[0:1]
	;; [unrolled: 1-line block ×3, first 2 shown]
	v_add_f64 v[4:5], v[28:29], v[4:5]
	v_fma_f64 v[88:89], v[88:89], s[6:7], v[84:85]
	v_fma_f64 v[106:107], v[90:91], s[2:3], v[68:69]
	;; [unrolled: 1-line block ×3, first 2 shown]
	v_add_f64 v[56:57], v[80:81], v[56:57]
	v_add_u32_e32 v68, 0x2378, v110
	ds_write_b64 v110, v[94:95] offset:9072
	ds_write2_b64 v68, v[96:97], v[0:1] offset1:1
	ds_write_b64 v110, v[4:5] offset:10584
	v_add_u32_e32 v0, 0x2960, v110
	ds_write2_b64 v0, v[70:71], v[88:89] offset1:1
	s_and_saveexec_b64 s[2:3], vcc
	s_cbranch_execz .LBB0_17
; %bb.16:
	v_add_u32_e32 v0, 0x1d88, v111
	ds_write2_b64 v0, v[56:57], v[106:107] offset1:1
	ds_write_b64 v111, v[84:85] offset:7576
.LBB0_17:
	s_or_b64 exec, exec, s[2:3]
	v_lshl_add_u32 v155, v154, 3, 0
	v_add_u32_e32 v0, 0x1000, v155
	v_add_u32_e32 v1, 0x2000, v155
	s_waitcnt lgkmcnt(0)
	; wave barrier
	s_waitcnt lgkmcnt(0)
	ds_read2_b64 v[100:103], v155 offset1:63
	ds_read2_b64 v[142:145], v0 offset0:13 offset1:76
	ds_read2_b64 v[146:149], v1 offset0:26 offset1:89
	;; [unrolled: 1-line block ×5, first 2 shown]
	v_add_u32_e32 v0, 0x400, v155
	ds_read2_b64 v[88:91], v0 offset0:124 offset1:187
	v_add_u32_e32 v0, 0x1800, v155
	v_add_u32_e32 v1, 0x2800, v155
	;; [unrolled: 1-line block ×3, first 2 shown]
	ds_read2_b64 v[130:133], v0 offset0:9 offset1:72
	ds_read2_b64 v[126:129], v1 offset0:22 offset1:85
	;; [unrolled: 1-line block ×5, first 2 shown]
	s_and_saveexec_b64 s[2:3], vcc
	s_cbranch_execz .LBB0_19
; %bb.18:
	ds_read_b64 v[56:57], v155 offset:4032
	ds_read_b64 v[106:107], v155 offset:8232
	;; [unrolled: 1-line block ×3, first 2 shown]
.LBB0_19:
	s_or_b64 exec, exec, s[2:3]
	v_add_f64 v[0:1], v[54:55], v[120:121]
	v_add_f64 v[52:53], v[118:119], -v[52:53]
	v_add_f64 v[118:119], v[46:47], v[42:43]
	v_add_f64 v[42:43], v[42:43], v[108:109]
	v_add_f64 v[40:41], v[40:41], -v[44:45]
	v_add_f64 v[44:45], v[22:23], v[104:105]
	v_add_f64 v[22:23], v[26:27], v[22:23]
	;; [unrolled: 1-line block ×3, first 2 shown]
	v_fma_f64 v[0:1], v[0:1], -0.5, v[112:113]
	s_mov_b32 s2, 0xe8584caa
	s_mov_b32 s3, 0xbfebb67a
	;; [unrolled: 1-line block ×4, first 2 shown]
	v_add_f64 v[42:43], v[46:47], v[42:43]
	v_add_f64 v[46:47], v[14:15], v[10:11]
	v_fma_f64 v[22:23], v[22:23], -0.5, v[104:105]
	v_add_f64 v[20:21], v[20:21], -v[24:25]
	v_add_f64 v[26:27], v[26:27], v[44:45]
	v_add_f64 v[44:45], v[78:79], v[18:19]
	;; [unrolled: 1-line block ×3, first 2 shown]
	v_fma_f64 v[54:55], v[52:53], s[2:3], v[0:1]
	v_fma_f64 v[0:1], v[52:53], s[6:7], v[0:1]
	v_add_f64 v[52:53], v[62:63], v[74:75]
	v_add_f64 v[10:11], v[10:11], v[98:99]
	v_fma_f64 v[46:47], v[46:47], -0.5, v[98:99]
	v_add_f64 v[8:9], v[8:9], -v[12:13]
	v_fma_f64 v[12:13], v[20:21], s[2:3], v[22:23]
	v_fma_f64 v[20:21], v[20:21], s[6:7], v[22:23]
	v_fma_f64 v[22:23], v[44:45], -0.5, v[92:93]
	v_add_f64 v[16:17], v[16:17], -v[76:77]
	v_add_f64 v[44:45], v[74:75], v[86:87]
	v_fma_f64 v[52:53], v[52:53], -0.5, v[86:87]
	v_add_f64 v[60:61], v[72:73], -v[60:61]
	v_add_f64 v[72:73], v[38:39], v[50:51]
	v_add_f64 v[10:11], v[14:15], v[10:11]
	v_fma_f64 v[14:15], v[8:9], s[2:3], v[46:47]
	v_fma_f64 v[8:9], v[8:9], s[6:7], v[46:47]
	;; [unrolled: 1-line block ×4, first 2 shown]
	v_add_f64 v[22:23], v[62:63], v[44:45]
	v_add_f64 v[44:45], v[30:31], v[34:35]
	v_fma_f64 v[108:109], v[118:119], -0.5, v[108:109]
	v_fma_f64 v[62:63], v[60:61], s[2:3], v[52:53]
	v_fma_f64 v[52:53], v[60:61], s[6:7], v[52:53]
	v_add_f64 v[60:61], v[82:83], v[66:67]
	v_add_f64 v[18:19], v[18:19], v[92:93]
	;; [unrolled: 1-line block ×3, first 2 shown]
	v_fma_f64 v[2:3], v[72:73], -0.5, v[2:3]
	v_add_f64 v[36:37], v[48:49], -v[36:37]
	v_add_f64 v[34:35], v[34:35], v[6:7]
	v_fma_f64 v[6:7], v[44:45], -0.5, v[6:7]
	v_add_f64 v[28:29], v[32:33], -v[28:29]
	v_fma_f64 v[24:25], v[40:41], s[2:3], v[108:109]
	v_add_f64 v[32:33], v[66:67], v[58:59]
	v_fma_f64 v[44:45], v[60:61], -0.5, v[58:59]
	v_add_f64 v[48:49], v[64:65], -v[80:81]
	v_fma_f64 v[40:41], v[40:41], s[6:7], v[108:109]
	v_add_f64 v[18:19], v[78:79], v[18:19]
	v_add_f64 v[38:39], v[38:39], v[50:51]
	v_fma_f64 v[58:59], v[36:37], s[2:3], v[2:3]
	v_add_f64 v[30:31], v[30:31], v[34:35]
	v_fma_f64 v[34:35], v[28:29], s[2:3], v[6:7]
	s_waitcnt lgkmcnt(0)
	; wave barrier
	s_waitcnt lgkmcnt(0)
	ds_write2_b64 v110, v[4:5], v[54:55] offset1:1
	ds_write2_b64 v110, v[42:43], v[24:25] offset0:189 offset1:190
	ds_write2_b64 v110, v[0:1], v[40:41] offset0:2 offset1:191
	v_add_u32_e32 v0, 0xbd0, v110
	v_fma_f64 v[2:3], v[36:37], s[6:7], v[2:3]
	v_fma_f64 v[6:7], v[28:29], s[6:7], v[6:7]
	v_add_f64 v[72:73], v[82:83], v[32:33]
	v_fma_f64 v[50:51], v[48:49], s[2:3], v[44:45]
	v_fma_f64 v[48:49], v[48:49], s[6:7], v[44:45]
	ds_write2_b64 v0, v[26:27], v[12:13] offset1:1
	v_add_u32_e32 v0, 0x11b8, v110
	ds_write2_b64 v0, v[10:11], v[14:15] offset1:1
	v_add_u32_e32 v0, 0xa00, v110
	ds_write2_b64 v0, v[20:21], v[8:9] offset0:60 offset1:249
	v_add_u32_e32 v0, 0x17a0, v110
	ds_write2_b64 v0, v[18:19], v[46:47] offset1:1
	v_add_u32_e32 v0, 0x1d88, v110
	ds_write2_b64 v0, v[22:23], v[62:63] offset1:1
	v_add_u32_e32 v0, 0x1600, v110
	ds_write2_b64 v0, v[16:17], v[52:53] offset0:54 offset1:243
	v_add_u32_e32 v0, 0x2370, v110
	ds_write2_b64 v0, v[38:39], v[58:59] offset1:1
	v_add_u32_e32 v0, 0x2958, v110
	ds_write2_b64 v0, v[30:31], v[34:35] offset1:1
	v_add_u32_e32 v0, 0x2200, v110
	ds_write2_b64 v0, v[2:3], v[6:7] offset0:48 offset1:237
	s_and_saveexec_b64 s[2:3], vcc
	s_cbranch_execz .LBB0_21
; %bb.20:
	v_add_u32_e32 v0, 0x1d88, v111
	ds_write2_b64 v0, v[72:73], v[50:51] offset1:1
	ds_write_b64 v111, v[48:49] offset:7576
.LBB0_21:
	s_or_b64 exec, exec, s[2:3]
	v_add_u32_e32 v0, 0x1000, v155
	v_add_u32_e32 v1, 0x2000, v155
	s_waitcnt lgkmcnt(0)
	; wave barrier
	s_waitcnt lgkmcnt(0)
	ds_read2_b64 v[16:19], v155 offset1:63
	ds_read2_b64 v[40:43], v0 offset0:13 offset1:76
	ds_read2_b64 v[44:47], v1 offset0:26 offset1:89
	;; [unrolled: 1-line block ×5, first 2 shown]
	v_add_u32_e32 v0, 0x400, v155
	ds_read2_b64 v[8:11], v0 offset0:124 offset1:187
	v_add_u32_e32 v0, 0x1800, v155
	v_add_u32_e32 v1, 0x2800, v155
	;; [unrolled: 1-line block ×3, first 2 shown]
	ds_read2_b64 v[28:31], v0 offset0:9 offset1:72
	ds_read2_b64 v[24:27], v1 offset0:22 offset1:85
	;; [unrolled: 1-line block ×5, first 2 shown]
	s_and_saveexec_b64 s[2:3], vcc
	s_cbranch_execz .LBB0_23
; %bb.22:
	ds_read_b64 v[72:73], v155 offset:4032
	ds_read_b64 v[50:51], v155 offset:8232
	;; [unrolled: 1-line block ×3, first 2 shown]
.LBB0_23:
	s_or_b64 exec, exec, s[2:3]
	v_add_u32_e32 v156, 63, v154
	s_movk_i32 s2, 0xab
	v_mul_lo_u16_sdwa v52, v154, s2 dst_sel:DWORD dst_unused:UNUSED_PAD src0_sel:BYTE_0 src1_sel:DWORD
	v_mul_lo_u16_sdwa v62, v156, s2 dst_sel:DWORD dst_unused:UNUSED_PAD src0_sel:BYTE_0 src1_sel:DWORD
	v_lshrrev_b16_e32 v218, 9, v52
	v_lshrrev_b16_e32 v220, 9, v62
	v_mul_lo_u16_e32 v52, 3, v218
	v_mul_lo_u16_e32 v62, 3, v220
	v_sub_u16_e32 v219, v154, v52
	v_mov_b32_e32 v66, 5
	v_sub_u16_e32 v221, v156, v62
	v_add_u32_e32 v157, 0x7e, v154
	v_lshlrev_b32_sdwa v58, v66, v219 dst_sel:DWORD dst_unused:UNUSED_PAD src0_sel:DWORD src1_sel:BYTE_0
	v_lshlrev_b32_sdwa v67, v66, v221 dst_sel:DWORD dst_unused:UNUSED_PAD src0_sel:DWORD src1_sel:BYTE_0
	global_load_dwordx4 v[52:55], v58, s[12:13] offset:16
	s_nop 0
	global_load_dwordx4 v[58:61], v58, s[12:13]
	s_nop 0
	global_load_dwordx4 v[62:65], v67, s[12:13] offset:16
	global_load_dwordx4 v[74:77], v67, s[12:13]
	v_mul_lo_u16_sdwa v67, v157, s2 dst_sel:DWORD dst_unused:UNUSED_PAD src0_sel:BYTE_0 src1_sel:DWORD
	v_lshrrev_b16_e32 v222, 9, v67
	v_mul_lo_u16_e32 v67, 3, v222
	v_sub_u16_e32 v223, v157, v67
	v_lshlrev_b32_sdwa v67, v66, v223 dst_sel:DWORD dst_unused:UNUSED_PAD src0_sel:DWORD src1_sel:BYTE_0
	global_load_dwordx4 v[78:81], v67, s[12:13] offset:16
	global_load_dwordx4 v[160:163], v67, s[12:13]
	v_add_u32_e32 v158, 0xbd, v154
	v_mul_lo_u16_sdwa v67, v158, s2 dst_sel:DWORD dst_unused:UNUSED_PAD src0_sel:BYTE_0 src1_sel:DWORD
	v_lshrrev_b16_e32 v224, 9, v67
	v_mul_lo_u16_e32 v67, 3, v224
	v_sub_u16_e32 v225, v158, v67
	v_add_u32_e32 v159, 0xfc, v154
	s_mov_b32 s2, 0xaaab
	v_lshlrev_b32_sdwa v66, v66, v225 dst_sel:DWORD dst_unused:UNUSED_PAD src0_sel:DWORD src1_sel:BYTE_0
	v_mul_u32_u24_sdwa v67, v159, s2 dst_sel:DWORD dst_unused:UNUSED_PAD src0_sel:WORD_0 src1_sel:DWORD
	global_load_dwordx4 v[164:167], v66, s[12:13]
	global_load_dwordx4 v[168:171], v66, s[12:13] offset:16
	v_lshrrev_b32_e32 v226, 17, v67
	v_mul_lo_u16_e32 v67, 3, v226
	v_sub_u16_e32 v227, v159, v67
	v_add_u32_e32 v66, 0x13b, v154
	v_lshlrev_b32_e32 v67, 5, v227
	global_load_dwordx4 v[172:175], v67, s[12:13] offset:16
	global_load_dwordx4 v[176:179], v67, s[12:13]
	v_mul_u32_u24_sdwa v67, v66, s2 dst_sel:DWORD dst_unused:UNUSED_PAD src0_sel:WORD_0 src1_sel:DWORD
	v_lshrrev_b32_e32 v228, 17, v67
	v_mul_lo_u16_e32 v67, 3, v228
	v_sub_u16_e32 v229, v66, v67
	v_lshlrev_b32_e32 v66, 5, v229
	global_load_dwordx4 v[180:183], v66, s[12:13]
	global_load_dwordx4 v[184:187], v66, s[12:13] offset:16
	v_add_u32_e32 v66, 0x17a, v154
	v_mul_u32_u24_sdwa v82, v66, s2 dst_sel:DWORD dst_unused:UNUSED_PAD src0_sel:WORD_0 src1_sel:DWORD
	v_lshrrev_b32_e32 v230, 17, v82
	v_mul_lo_u16_e32 v82, 3, v230
	v_sub_u16_e32 v231, v66, v82
	v_lshlrev_b32_e32 v66, 5, v231
	global_load_dwordx4 v[188:191], v66, s[12:13] offset:16
	global_load_dwordx4 v[192:195], v66, s[12:13]
	v_add_u32_e32 v67, 0x1b9, v154
	v_mul_u32_u24_sdwa v66, v67, s2 dst_sel:DWORD dst_unused:UNUSED_PAD src0_sel:WORD_0 src1_sel:DWORD
	v_lshrrev_b32_e32 v232, 17, v66
	v_mul_lo_u16_e32 v66, 3, v232
	v_sub_u16_e32 v233, v67, v66
	v_lshlrev_b32_e32 v66, 5, v233
	global_load_dwordx4 v[196:199], v66, s[12:13]
	global_load_dwordx4 v[200:203], v66, s[12:13] offset:16
	v_add_u32_e32 v66, 0x1f8, v154
	v_mul_u32_u24_sdwa v67, v66, s2 dst_sel:DWORD dst_unused:UNUSED_PAD src0_sel:WORD_0 src1_sel:DWORD
	v_lshrrev_b32_e32 v234, 17, v67
	v_mul_lo_u16_e32 v67, 3, v234
	v_sub_u16_e32 v235, v66, v67
	v_lshlrev_b32_e32 v66, 5, v235
	global_load_dwordx4 v[204:207], v66, s[12:13]
	global_load_dwordx4 v[208:211], v66, s[12:13] offset:16
	s_mov_b32 s2, 0xe8584caa
	s_mov_b32 s3, 0x3febb67a
	;; [unrolled: 1-line block ×4, first 2 shown]
	s_waitcnt lgkmcnt(0)
	; wave barrier
	s_waitcnt vmcnt(17) lgkmcnt(0)
	v_mul_f64 v[82:83], v[44:45], v[54:55]
	s_waitcnt vmcnt(16)
	v_mul_f64 v[66:67], v[40:41], v[60:61]
	v_mul_f64 v[60:61], v[142:143], v[60:61]
	s_waitcnt vmcnt(14)
	v_mul_f64 v[86:87], v[42:43], v[76:77]
	v_mul_f64 v[76:77], v[144:145], v[76:77]
	;; [unrolled: 1-line block ×4, first 2 shown]
	s_waitcnt vmcnt(13)
	v_mul_f64 v[214:215], v[32:33], v[80:81]
	v_mul_f64 v[80:81], v[134:135], v[80:81]
	;; [unrolled: 1-line block ×3, first 2 shown]
	s_waitcnt vmcnt(12)
	v_mul_f64 v[212:213], v[36:37], v[162:163]
	v_mul_f64 v[162:163], v[138:139], v[162:163]
	v_fma_f64 v[98:99], v[142:143], v[58:59], -v[66:67]
	v_fma_f64 v[110:111], v[40:41], v[58:59], v[60:61]
	v_fma_f64 v[120:121], v[42:43], v[74:75], v[76:77]
	;; [unrolled: 1-line block ×4, first 2 shown]
	s_waitcnt vmcnt(11)
	v_mul_f64 v[40:41], v[140:141], v[166:167]
	s_waitcnt vmcnt(10)
	v_mul_f64 v[32:33], v[136:137], v[170:171]
	v_mul_f64 v[216:217], v[38:39], v[166:167]
	v_fma_f64 v[108:109], v[144:145], v[74:75], -v[86:87]
	v_fma_f64 v[118:119], v[148:149], v[62:63], -v[92:93]
	v_fma_f64 v[74:75], v[46:47], v[62:63], v[104:105]
	v_fma_f64 v[104:105], v[36:37], v[160:161], v[162:163]
	s_waitcnt vmcnt(8)
	v_mul_f64 v[42:43], v[130:131], v[178:179]
	v_mul_f64 v[36:37], v[34:35], v[170:171]
	v_fma_f64 v[92:93], v[134:135], v[78:79], -v[214:215]
	v_fma_f64 v[78:79], v[38:39], v[164:165], v[40:41]
	v_mul_f64 v[38:39], v[28:29], v[178:179]
	v_mul_f64 v[58:59], v[126:127], v[174:175]
	v_fma_f64 v[44:45], v[34:35], v[168:169], v[32:33]
	s_waitcnt vmcnt(7)
	v_mul_f64 v[32:33], v[132:133], v[182:183]
	v_fma_f64 v[112:113], v[146:147], v[52:53], -v[82:83]
	v_mul_f64 v[60:61], v[30:31], v[182:183]
	v_fma_f64 v[52:53], v[28:29], v[176:177], v[42:43]
	s_waitcnt vmcnt(6)
	v_mul_f64 v[28:29], v[26:27], v[186:187]
	v_fma_f64 v[62:63], v[136:137], v[168:169], -v[36:37]
	v_mul_f64 v[36:37], v[24:25], v[174:175]
	v_fma_f64 v[40:41], v[130:131], v[176:177], -v[38:39]
	v_fma_f64 v[38:39], v[24:25], v[172:173], v[58:59]
	v_mul_f64 v[24:25], v[128:129], v[186:187]
	v_fma_f64 v[58:59], v[30:31], v[180:181], v[32:33]
	s_waitcnt vmcnt(4)
	v_mul_f64 v[30:31], v[20:21], v[194:195]
	v_mul_f64 v[32:33], v[122:123], v[194:195]
	;; [unrolled: 1-line block ×3, first 2 shown]
	v_fma_f64 v[42:43], v[132:133], v[180:181], -v[60:61]
	v_fma_f64 v[60:61], v[128:129], v[184:185], -v[28:29]
	v_mul_f64 v[28:29], v[0:1], v[190:191]
	v_fma_f64 v[54:55], v[126:127], v[172:173], -v[36:37]
	s_waitcnt vmcnt(3)
	v_mul_f64 v[76:77], v[22:23], v[198:199]
	v_fma_f64 v[36:37], v[26:27], v[184:185], v[24:25]
	v_mul_f64 v[80:81], v[124:125], v[198:199]
	v_fma_f64 v[26:27], v[122:123], v[192:193], -v[30:31]
	v_fma_f64 v[30:31], v[20:21], v[192:193], v[32:33]
	s_waitcnt vmcnt(2)
	v_mul_f64 v[20:21], v[2:3], v[202:203]
	v_fma_f64 v[24:25], v[0:1], v[188:189], v[34:35]
	v_mul_f64 v[0:1], v[116:117], v[202:203]
	v_fma_f64 v[32:33], v[114:115], v[188:189], -v[28:29]
	v_add_f64 v[114:115], v[98:99], v[112:113]
	v_fma_f64 v[28:29], v[124:125], v[196:197], -v[76:77]
	v_fma_f64 v[34:35], v[22:23], v[196:197], v[80:81]
	s_waitcnt vmcnt(1)
	v_mul_f64 v[22:23], v[50:51], v[206:207]
	v_fma_f64 v[80:81], v[116:117], v[200:201], -v[20:21]
	v_mul_f64 v[20:21], v[106:107], v[206:207]
	s_waitcnt vmcnt(0)
	v_mul_f64 v[116:117], v[48:49], v[210:211]
	v_mul_f64 v[122:123], v[84:85], v[210:211]
	v_fma_f64 v[76:77], v[2:3], v[200:201], v[0:1]
	v_add_f64 v[0:1], v[100:101], v[98:99]
	v_fma_f64 v[86:87], v[138:139], v[160:161], -v[212:213]
	v_fma_f64 v[2:3], v[114:115], -0.5, v[100:101]
	v_add_f64 v[100:101], v[110:111], -v[64:65]
	v_fma_f64 v[46:47], v[140:141], v[164:165], -v[216:217]
	v_fma_f64 v[82:83], v[106:107], v[204:205], -v[22:23]
	v_fma_f64 v[20:21], v[50:51], v[204:205], v[20:21]
	v_fma_f64 v[50:51], v[84:85], v[208:209], -v[116:117]
	v_fma_f64 v[22:23], v[48:49], v[208:209], v[122:123]
	v_add_f64 v[48:49], v[108:109], v[118:119]
	v_add_f64 v[84:85], v[0:1], v[112:113]
	;; [unrolled: 1-line block ×3, first 2 shown]
	v_fma_f64 v[106:107], v[100:101], s[2:3], v[2:3]
	v_fma_f64 v[100:101], v[100:101], s[6:7], v[2:3]
	v_add_f64 v[2:3], v[94:95], v[86:87]
	v_add_f64 v[114:115], v[86:87], v[92:93]
	;; [unrolled: 1-line block ×3, first 2 shown]
	v_fma_f64 v[48:49], v[48:49], -0.5, v[102:103]
	v_add_f64 v[102:103], v[120:121], -v[74:75]
	v_add_f64 v[116:117], v[0:1], v[118:119]
	v_add_f64 v[0:1], v[46:47], v[62:63]
	;; [unrolled: 1-line block ×5, first 2 shown]
	v_fma_f64 v[94:95], v[114:115], -0.5, v[94:95]
	v_add_f64 v[114:115], v[104:105], -v[66:67]
	v_fma_f64 v[122:123], v[102:103], s[2:3], v[48:49]
	v_fma_f64 v[48:49], v[102:103], s[6:7], v[48:49]
	v_add_f64 v[102:103], v[96:97], v[46:47]
	v_fma_f64 v[0:1], v[0:1], -0.5, v[96:97]
	v_add_f64 v[96:97], v[78:79], -v[44:45]
	v_fma_f64 v[2:3], v[2:3], -0.5, v[88:89]
	v_add_f64 v[88:89], v[52:53], -v[38:39]
	v_fma_f64 v[126:127], v[114:115], s[2:3], v[94:95]
	v_fma_f64 v[94:95], v[114:115], s[6:7], v[94:95]
	v_add_f64 v[114:115], v[42:43], v[60:61]
	v_add_f64 v[142:143], v[70:71], v[28:29]
	v_add_f64 v[146:147], v[20:21], -v[22:23]
	v_fma_f64 v[130:131], v[96:97], s[2:3], v[0:1]
	v_fma_f64 v[96:97], v[96:97], s[6:7], v[0:1]
	v_add_f64 v[0:1], v[90:91], v[42:43]
	v_fma_f64 v[134:135], v[88:89], s[2:3], v[2:3]
	v_fma_f64 v[136:137], v[88:89], s[6:7], v[2:3]
	v_add_f64 v[2:3], v[28:29], v[80:81]
	v_fma_f64 v[90:91], v[114:115], -0.5, v[90:91]
	v_add_f64 v[114:115], v[58:59], -v[36:37]
	v_add_f64 v[88:89], v[68:69], v[26:27]
	v_fma_f64 v[68:69], v[132:133], -0.5, v[68:69]
	v_add_f64 v[138:139], v[0:1], v[60:61]
	v_add_f64 v[0:1], v[82:83], v[50:51]
	v_add_f64 v[132:133], v[30:31], -v[24:25]
	v_fma_f64 v[2:3], v[2:3], -0.5, v[70:71]
	v_add_f64 v[70:71], v[34:35], -v[76:77]
	v_fma_f64 v[140:141], v[114:115], s[2:3], v[90:91]
	v_fma_f64 v[90:91], v[114:115], s[6:7], v[90:91]
	v_add_f64 v[114:115], v[88:89], v[32:33]
	v_mov_b32_e32 v88, 3
	v_fma_f64 v[144:145], v[0:1], -0.5, v[56:57]
	v_fma_f64 v[148:149], v[132:133], s[2:3], v[68:69]
	v_fma_f64 v[68:69], v[132:133], s[6:7], v[68:69]
	v_add_f64 v[132:133], v[142:143], v[80:81]
	v_fma_f64 v[142:143], v[70:71], s[2:3], v[2:3]
	v_fma_f64 v[160:161], v[70:71], s[6:7], v[2:3]
	v_mul_u32_u24_e32 v70, 0x48, v218
	v_lshlrev_b32_sdwa v71, v88, v219 dst_sel:DWORD dst_unused:UNUSED_PAD src0_sel:DWORD src1_sel:BYTE_0
	v_add3_u32 v70, 0, v70, v71
	v_add_f64 v[102:103], v[102:103], v[62:63]
	v_add_f64 v[128:129], v[128:129], v[54:55]
	ds_write2_b64 v70, v[84:85], v[106:107] offset1:3
	ds_write_b64 v70, v[100:101] offset:48
	v_mul_u32_u24_e32 v71, 0x48, v220
	v_lshlrev_b32_sdwa v84, v88, v221 dst_sel:DWORD dst_unused:UNUSED_PAD src0_sel:DWORD src1_sel:BYTE_0
	v_fma_f64 v[0:1], v[146:147], s[2:3], v[144:145]
	v_fma_f64 v[2:3], v[146:147], s[6:7], v[144:145]
	v_add3_u32 v71, 0, v71, v84
	ds_write2_b64 v71, v[116:117], v[122:123] offset1:3
	ds_write_b64 v71, v[48:49] offset:48
	v_mul_u32_u24_e32 v48, 0x48, v222
	v_lshlrev_b32_sdwa v49, v88, v223 dst_sel:DWORD dst_unused:UNUSED_PAD src0_sel:DWORD src1_sel:BYTE_0
	v_add3_u32 v84, 0, v48, v49
	v_mul_u32_u24_e32 v48, 0x48, v224
	v_lshlrev_b32_sdwa v49, v88, v225 dst_sel:DWORD dst_unused:UNUSED_PAD src0_sel:DWORD src1_sel:BYTE_0
	v_add3_u32 v85, 0, v48, v49
	v_mul_u32_u24_e32 v48, 0x48, v226
	v_lshlrev_b32_e32 v49, 3, v227
	v_add3_u32 v88, 0, v48, v49
	v_mul_u32_u24_e32 v48, 0x48, v228
	v_lshlrev_b32_e32 v49, 3, v229
	;; [unrolled: 3-line block ×3, first 2 shown]
	ds_write2_b64 v84, v[124:125], v[126:127] offset1:3
	ds_write_b64 v84, v[94:95] offset:48
	v_add3_u32 v94, 0, v48, v49
	v_mul_u32_u24_e32 v48, 0x48, v232
	v_lshlrev_b32_e32 v49, 3, v233
	ds_write2_b64 v85, v[102:103], v[130:131] offset1:3
	ds_write_b64 v85, v[96:97] offset:48
	ds_write2_b64 v88, v[128:129], v[134:135] offset1:3
	ds_write_b64 v88, v[136:137] offset:48
	;; [unrolled: 2-line block ×3, first 2 shown]
	v_add3_u32 v95, 0, v48, v49
	v_mul_lo_u16_e32 v90, 9, v234
	v_lshlrev_b32_e32 v91, 3, v235
	ds_write2_b64 v94, v[114:115], v[148:149] offset1:3
	ds_write_b64 v94, v[68:69] offset:48
	ds_write2_b64 v95, v[132:133], v[142:143] offset1:3
	ds_write_b64 v95, v[160:161] offset:48
	s_and_saveexec_b64 s[8:9], vcc
	s_cbranch_execz .LBB0_25
; %bb.24:
	v_add_f64 v[48:49], v[56:57], v[82:83]
	v_lshlrev_b32_e32 v56, 3, v90
	v_add3_u32 v56, 0, v91, v56
	v_add_f64 v[48:49], v[48:49], v[50:51]
	ds_write2_b64 v56, v[48:49], v[0:1] offset1:3
	ds_write_b64 v56, v[2:3] offset:48
.LBB0_25:
	s_or_b64 exec, exec, s[8:9]
	v_add_f64 v[48:49], v[110:111], v[64:65]
	v_add_f64 v[56:57], v[120:121], v[74:75]
	;; [unrolled: 1-line block ×3, first 2 shown]
	v_add_f64 v[96:97], v[98:99], -v[112:113]
	v_add_f64 v[98:99], v[18:19], v[120:121]
	v_add_f64 v[46:47], v[46:47], -v[62:63]
	v_add_f64 v[102:103], v[104:105], v[66:67]
	v_add_f64 v[40:41], v[40:41], -v[54:55]
	v_fma_f64 v[16:17], v[48:49], -0.5, v[16:17]
	v_add_f64 v[48:49], v[12:13], v[104:105]
	v_fma_f64 v[18:19], v[56:57], -0.5, v[18:19]
	v_add_f64 v[56:57], v[86:87], -v[92:93]
	v_add_f64 v[86:87], v[78:79], v[44:45]
	v_add_f64 v[92:93], v[68:69], v[64:65]
	;; [unrolled: 1-line block ×3, first 2 shown]
	v_fma_f64 v[12:13], v[102:103], -0.5, v[12:13]
	v_add_f64 v[100:101], v[108:109], -v[118:119]
	v_add_f64 v[78:79], v[48:49], v[66:67]
	v_add_f64 v[48:49], v[52:53], v[38:39]
	v_add_f64 v[26:27], v[26:27], -v[32:33]
	v_fma_f64 v[14:15], v[86:87], -0.5, v[14:15]
	v_add_f64 v[32:33], v[6:7], v[34:35]
	v_add_f64 v[110:111], v[64:65], v[44:45]
	;; [unrolled: 1-line block ×3, first 2 shown]
	v_fma_f64 v[86:87], v[56:57], s[6:7], v[12:13]
	v_fma_f64 v[108:109], v[56:57], s[2:3], v[12:13]
	v_fma_f64 v[8:9], v[48:49], -0.5, v[8:9]
	v_add_f64 v[12:13], v[58:59], v[36:37]
	v_fma_f64 v[112:113], v[46:47], s[6:7], v[14:15]
	v_fma_f64 v[114:115], v[46:47], s[2:3], v[14:15]
	v_add_f64 v[14:15], v[10:11], v[58:59]
	v_add_f64 v[116:117], v[44:45], v[38:39]
	;; [unrolled: 1-line block ×4, first 2 shown]
	v_fma_f64 v[118:119], v[40:41], s[6:7], v[8:9]
	v_fma_f64 v[120:121], v[40:41], s[2:3], v[8:9]
	v_add_f64 v[8:9], v[34:35], v[76:77]
	v_fma_f64 v[10:11], v[12:13], -0.5, v[10:11]
	v_add_f64 v[122:123], v[14:15], v[36:37]
	v_add_f64 v[14:15], v[20:21], v[22:23]
	v_fma_f64 v[4:5], v[38:39], -0.5, v[4:5]
	v_add_f64 v[12:13], v[42:43], -v[60:61]
	v_add_f64 v[74:75], v[98:99], v[74:75]
	v_fma_f64 v[98:99], v[96:97], s[6:7], v[16:17]
	v_fma_f64 v[6:7], v[8:9], -0.5, v[6:7]
	v_add_f64 v[8:9], v[28:29], -v[80:81]
	v_add_f64 v[28:29], v[82:83], -v[50:51]
	v_fma_f64 v[14:15], v[14:15], -0.5, v[72:73]
	v_fma_f64 v[82:83], v[26:27], s[6:7], v[4:5]
	v_fma_f64 v[126:127], v[26:27], s[2:3], v[4:5]
	v_fma_f64 v[96:97], v[96:97], s[2:3], v[16:17]
	v_fma_f64 v[102:103], v[100:101], s[6:7], v[18:19]
	v_add_u32_e32 v16, 0x400, v155
	v_fma_f64 v[128:129], v[8:9], s[6:7], v[6:7]
	v_fma_f64 v[130:131], v[8:9], s[2:3], v[6:7]
	;; [unrolled: 1-line block ×4, first 2 shown]
	v_add_u32_e32 v104, 0x1000, v155
	v_add_u32_e32 v105, 0x1800, v155
	;; [unrolled: 1-line block ×9, first 2 shown]
	v_fma_f64 v[17:18], v[100:101], s[2:3], v[18:19]
	v_fma_f64 v[124:125], v[12:13], s[6:7], v[10:11]
	;; [unrolled: 1-line block ×3, first 2 shown]
	v_add_f64 v[30:31], v[30:31], v[24:25]
	v_add_f64 v[76:77], v[32:33], v[76:77]
	s_waitcnt lgkmcnt(0)
	; wave barrier
	s_waitcnt lgkmcnt(0)
	ds_read2_b64 v[24:27], v155 offset1:63
	ds_read2_b64 v[8:11], v16 offset0:124 offset1:187
	ds_read2_b64 v[60:63], v104 offset0:118 offset1:181
	;; [unrolled: 1-line block ×11, first 2 shown]
	ds_read_b64 v[100:101], v155 offset:12096
	s_waitcnt lgkmcnt(0)
	; wave barrier
	s_waitcnt lgkmcnt(0)
	ds_write2_b64 v70, v[92:93], v[98:99] offset1:3
	ds_write_b64 v70, v[96:97] offset:48
	ds_write2_b64 v71, v[74:75], v[102:103] offset1:3
	ds_write_b64 v71, v[17:18] offset:48
	;; [unrolled: 2-line block ×8, first 2 shown]
	s_and_saveexec_b64 s[2:3], vcc
	s_cbranch_execz .LBB0_27
; %bb.26:
	v_add_f64 v[17:18], v[72:73], v[20:21]
	v_lshlrev_b32_e32 v19, 3, v90
	v_add3_u32 v19, 0, v91, v19
	v_add_f64 v[17:18], v[17:18], v[22:23]
	ds_write2_b64 v19, v[17:18], v[4:5] offset1:3
	ds_write_b64 v19, v[6:7] offset:48
.LBB0_27:
	s_or_b64 exec, exec, s[2:3]
	v_mov_b32_e32 v17, 57
	v_mul_lo_u16_sdwa v18, v154, v17 dst_sel:DWORD dst_unused:UNUSED_PAD src0_sel:BYTE_0 src1_sel:DWORD
	v_lshrrev_b16_e32 v163, 9, v18
	v_mul_lo_u16_e32 v18, 9, v163
	v_sub_u16_e32 v164, v154, v18
	v_mov_b32_e32 v18, 6
	v_lshlrev_b32_sdwa v19, v18, v164 dst_sel:DWORD dst_unused:UNUSED_PAD src0_sel:DWORD src1_sel:BYTE_0
	s_waitcnt lgkmcnt(0)
	; wave barrier
	s_waitcnt lgkmcnt(0)
	global_load_dwordx4 v[70:73], v19, s[12:13] offset:112
	global_load_dwordx4 v[74:77], v19, s[12:13] offset:96
	global_load_dwordx4 v[78:81], v19, s[12:13] offset:144
	global_load_dwordx4 v[82:85], v19, s[12:13] offset:128
	v_mul_lo_u16_sdwa v19, v156, v17 dst_sel:DWORD dst_unused:UNUSED_PAD src0_sel:BYTE_0 src1_sel:DWORD
	v_lshrrev_b16_e32 v165, 9, v19
	v_mul_lo_u16_e32 v19, 9, v165
	v_sub_u16_e32 v166, v156, v19
	v_lshlrev_b32_sdwa v19, v18, v166 dst_sel:DWORD dst_unused:UNUSED_PAD src0_sel:DWORD src1_sel:BYTE_0
	global_load_dwordx4 v[86:89], v19, s[12:13] offset:112
	global_load_dwordx4 v[90:93], v19, s[12:13] offset:96
	global_load_dwordx4 v[94:97], v19, s[12:13] offset:144
	global_load_dwordx4 v[108:111], v19, s[12:13] offset:128
	v_mul_lo_u16_sdwa v19, v157, v17 dst_sel:DWORD dst_unused:UNUSED_PAD src0_sel:BYTE_0 src1_sel:DWORD
	v_lshrrev_b16_e32 v167, 9, v19
	v_mul_lo_u16_e32 v19, 9, v167
	v_sub_u16_e32 v168, v157, v19
	v_lshlrev_b32_sdwa v19, v18, v168 dst_sel:DWORD dst_unused:UNUSED_PAD src0_sel:DWORD src1_sel:BYTE_0
	;; [unrolled: 9-line block ×3, first 2 shown]
	global_load_dwordx4 v[181:184], v17, s[12:13] offset:96
	global_load_dwordx4 v[185:188], v17, s[12:13] offset:112
	;; [unrolled: 1-line block ×4, first 2 shown]
	s_mov_b32 s2, 0xe38f
	v_mul_u32_u24_sdwa v17, v159, s2 dst_sel:DWORD dst_unused:UNUSED_PAD src0_sel:WORD_0 src1_sel:DWORD
	v_lshrrev_b32_e32 v251, 19, v17
	v_mul_lo_u16_e32 v17, 9, v251
	v_sub_u16_e32 v252, v159, v17
	v_lshlrev_b32_e32 v20, 6, v252
	global_load_dwordx4 v[197:200], v20, s[12:13] offset:96
	global_load_dwordx4 v[201:204], v20, s[12:13] offset:112
	ds_read2_b64 v[28:31], v155 offset1:63
	ds_read2_b64 v[16:19], v16 offset0:124 offset1:187
	ds_read2_b64 v[112:115], v104 offset0:118 offset1:181
	;; [unrolled: 1-line block ×4, first 2 shown]
	global_load_dwordx4 v[209:212], v20, s[12:13] offset:144
	global_load_dwordx4 v[213:216], v20, s[12:13] offset:128
	ds_read2_b64 v[217:220], v106 offset0:122 offset1:185
	ds_read2_b64 v[221:224], v68 offset0:112 offset1:175
	;; [unrolled: 1-line block ×7, first 2 shown]
	ds_read_b64 v[241:242], v155 offset:12096
	s_mov_b32 s2, 0x134454ff
	s_mov_b32 s3, 0x3fee6f0e
	;; [unrolled: 1-line block ×10, first 2 shown]
	s_waitcnt lgkmcnt(0)
	; wave barrier
	s_waitcnt lgkmcnt(0)
	v_cmp_gt_u32_e32 vcc, 36, v154
	s_waitcnt vmcnt(19)
	v_mul_f64 v[98:99], v[112:113], v[72:73]
	s_waitcnt vmcnt(18)
	v_mul_f64 v[68:69], v[18:19], v[76:77]
	v_mul_f64 v[76:77], v[10:11], v[76:77]
	s_waitcnt vmcnt(16)
	v_mul_f64 v[102:103], v[207:208], v[84:85]
	v_mul_f64 v[124:125], v[116:117], v[80:81]
	;; [unrolled: 1-line block ×4, first 2 shown]
	s_waitcnt vmcnt(14)
	v_mul_f64 v[126:127], v[217:218], v[92:93]
	v_mul_f64 v[130:131], v[114:115], v[88:89]
	v_fma_f64 v[146:147], v[10:11], v[74:75], -v[68:69]
	s_waitcnt vmcnt(12)
	v_mul_f64 v[138:139], v[221:222], v[110:111]
	v_mul_f64 v[245:246], v[118:119], v[96:97]
	s_waitcnt vmcnt(11)
	v_mul_f64 v[10:11], v[58:59], v[122:123]
	v_mul_f64 v[96:97], v[66:67], v[96:97]
	v_mul_f64 v[247:248], v[219:220], v[122:123]
	v_fma_f64 v[140:141], v[18:19], v[74:75], v[76:77]
	v_fma_f64 v[144:145], v[34:35], v[82:83], -v[102:103]
	v_fma_f64 v[128:129], v[116:117], v[78:79], v[80:81]
	s_waitcnt vmcnt(10)
	v_mul_f64 v[18:19], v[225:226], v[171:172]
	v_mul_f64 v[34:35], v[48:49], v[171:172]
	v_fma_f64 v[80:81], v[219:220], v[120:121], v[10:11]
	s_waitcnt vmcnt(7)
	v_mul_f64 v[10:11], v[233:234], v[183:184]
	v_mul_f64 v[72:73], v[60:61], v[72:73]
	;; [unrolled: 1-line block ×4, first 2 shown]
	v_fma_f64 v[142:143], v[60:61], v[70:71], -v[98:99]
	v_fma_f64 v[132:133], v[207:208], v[82:83], v[84:85]
	v_fma_f64 v[136:137], v[56:57], v[90:91], -v[126:127]
	v_fma_f64 v[126:127], v[62:63], v[86:87], -v[130:131]
	v_fma_f64 v[130:131], v[52:53], v[108:109], -v[138:139]
	v_fma_f64 v[116:117], v[118:119], v[94:95], v[96:97]
	v_mul_f64 v[52:53], v[223:224], v[175:176]
	v_fma_f64 v[118:119], v[58:59], v[120:121], -v[247:248]
	v_mul_f64 v[58:59], v[229:230], v[179:180]
	v_fma_f64 v[102:103], v[48:49], v[169:170], -v[18:19]
	v_fma_f64 v[82:83], v[225:226], v[169:170], v[34:35]
	v_mul_f64 v[18:19], v[40:41], v[183:184]
	s_waitcnt vmcnt(6)
	v_mul_f64 v[34:35], v[227:228], v[187:188]
	s_waitcnt vmcnt(5)
	v_mul_f64 v[48:49], v[237:238], v[191:192]
	v_fma_f64 v[98:99], v[40:41], v[181:182], -v[10:11]
	s_waitcnt vmcnt(4)
	v_mul_f64 v[10:11], v[231:232], v[195:196]
	v_mul_f64 v[40:41], v[46:47], v[195:196]
	v_fma_f64 v[134:135], v[112:113], v[70:71], v[72:73]
	v_fma_f64 v[148:149], v[64:65], v[78:79], -v[124:125]
	v_fma_f64 v[112:113], v[114:115], v[86:87], v[88:89]
	v_fma_f64 v[114:115], v[221:222], v[108:109], v[243:244]
	v_fma_f64 v[138:139], v[66:67], v[94:95], -v[245:246]
	v_mul_f64 v[60:61], v[44:45], v[179:180]
	v_fma_f64 v[108:109], v[54:55], v[173:174], -v[52:53]
	v_fma_f64 v[124:125], v[44:45], v[177:178], -v[58:59]
	v_mul_f64 v[44:45], v[50:51], v[187:188]
	v_mul_f64 v[52:53], v[36:37], v[191:192]
	v_fma_f64 v[94:95], v[50:51], v[185:186], -v[34:35]
	v_fma_f64 v[96:97], v[36:37], v[189:190], -v[48:49]
	s_waitcnt vmcnt(3)
	v_mul_f64 v[34:35], v[235:236], v[199:200]
	v_fma_f64 v[120:121], v[46:47], v[193:194], -v[10:11]
	v_fma_f64 v[72:73], v[231:232], v[193:194], v[40:41]
	v_mul_f64 v[10:11], v[42:43], v[199:200]
	s_waitcnt vmcnt(2)
	v_mul_f64 v[36:37], v[205:206], v[203:204]
	v_add_f64 v[40:41], v[24:25], v[146:147]
	v_add_f64 v[46:47], v[142:143], v[144:145]
	v_mul_f64 v[92:93], v[56:57], v[92:93]
	v_fma_f64 v[70:71], v[227:228], v[185:186], v[44:45]
	v_mul_f64 v[44:45], v[32:33], v[203:204]
	v_fma_f64 v[86:87], v[42:43], v[197:198], -v[34:35]
	s_waitcnt vmcnt(0)
	v_mul_f64 v[34:35], v[239:240], v[215:216]
	v_mul_f64 v[42:43], v[38:39], v[215:216]
	v_fma_f64 v[74:75], v[235:236], v[197:198], v[10:11]
	v_fma_f64 v[88:89], v[32:33], v[201:202], -v[36:37]
	v_add_f64 v[10:11], v[40:41], v[142:143]
	v_fma_f64 v[32:33], v[46:47], -0.5, v[24:25]
	v_add_f64 v[36:37], v[140:141], -v[128:129]
	v_fma_f64 v[110:111], v[217:218], v[90:91], v[92:93]
	v_fma_f64 v[92:93], v[38:39], v[213:214], -v[34:35]
	v_fma_f64 v[76:77], v[239:240], v[213:214], v[42:43]
	v_mul_f64 v[34:35], v[241:242], v[211:212]
	v_mul_f64 v[38:39], v[100:101], v[211:212]
	v_add_f64 v[10:11], v[10:11], v[144:145]
	v_add_f64 v[42:43], v[134:135], -v[132:133]
	v_fma_f64 v[40:41], v[36:37], s[2:3], v[32:33]
	v_add_f64 v[48:49], v[146:147], v[148:149]
	v_fma_f64 v[78:79], v[205:206], v[201:202], v[44:45]
	v_add_f64 v[44:45], v[146:147], -v[142:143]
	v_add_f64 v[46:47], v[148:149], -v[144:145]
	v_fma_f64 v[122:123], v[100:101], v[209:210], -v[34:35]
	v_fma_f64 v[100:101], v[241:242], v[209:210], v[38:39]
	v_add_f64 v[38:39], v[10:11], v[148:149]
	v_fma_f64 v[10:11], v[42:43], s[8:9], v[40:41]
	v_fma_f64 v[24:25], v[48:49], -0.5, v[24:25]
	v_add_f64 v[40:41], v[26:27], v[136:137]
	v_fma_f64 v[32:33], v[36:37], s[14:15], v[32:33]
	v_add_f64 v[34:35], v[44:45], v[46:47]
	v_add_f64 v[44:45], v[126:127], v[130:131]
	v_add_f64 v[48:49], v[142:143], -v[146:147]
	v_add_f64 v[50:51], v[144:145], -v[148:149]
	v_mul_f64 v[56:57], v[54:55], v[175:176]
	v_fma_f64 v[46:47], v[42:43], s[14:15], v[24:25]
	v_fma_f64 v[24:25], v[42:43], s[2:3], v[24:25]
	v_add_f64 v[40:41], v[40:41], v[126:127]
	v_fma_f64 v[32:33], v[42:43], s[16:17], v[32:33]
	v_fma_f64 v[42:43], v[44:45], -0.5, v[26:27]
	v_add_f64 v[44:45], v[110:111], -v[116:117]
	v_add_f64 v[48:49], v[48:49], v[50:51]
	v_fma_f64 v[68:69], v[233:234], v[181:182], v[18:19]
	v_fma_f64 v[46:47], v[36:37], s[8:9], v[46:47]
	;; [unrolled: 1-line block ×3, first 2 shown]
	v_add_f64 v[36:37], v[136:137], v[138:139]
	v_add_f64 v[40:41], v[40:41], v[130:131]
	v_fma_f64 v[18:19], v[237:238], v[189:190], v[52:53]
	v_fma_f64 v[50:51], v[34:35], s[6:7], v[10:11]
	;; [unrolled: 1-line block ×4, first 2 shown]
	v_add_f64 v[32:33], v[112:113], -v[114:115]
	v_fma_f64 v[46:47], v[48:49], s[6:7], v[46:47]
	v_fma_f64 v[24:25], v[48:49], s[6:7], v[24:25]
	v_fma_f64 v[26:27], v[36:37], -0.5, v[26:27]
	v_add_f64 v[36:37], v[40:41], v[138:139]
	v_add_f64 v[34:35], v[136:137], -v[126:127]
	v_add_f64 v[40:41], v[138:139], -v[130:131]
	v_fma_f64 v[42:43], v[44:45], s[14:15], v[42:43]
	v_add_f64 v[48:49], v[12:13], v[118:119]
	v_fma_f64 v[84:85], v[223:224], v[173:174], v[56:57]
	v_fma_f64 v[90:91], v[229:230], v[177:178], v[60:61]
	;; [unrolled: 1-line block ×3, first 2 shown]
	v_add_f64 v[54:55], v[102:103], v[108:109]
	v_fma_f64 v[56:57], v[32:33], s[14:15], v[26:27]
	v_add_f64 v[58:59], v[126:127], -v[136:137]
	v_add_f64 v[60:61], v[130:131], -v[138:139]
	v_add_f64 v[34:35], v[34:35], v[40:41]
	v_fma_f64 v[40:41], v[32:33], s[16:17], v[42:43]
	v_fma_f64 v[26:27], v[32:33], s[2:3], v[26:27]
	v_add_f64 v[32:33], v[48:49], v[102:103]
	v_fma_f64 v[42:43], v[54:55], -0.5, v[12:13]
	v_fma_f64 v[54:55], v[44:45], s[8:9], v[56:57]
	v_add_f64 v[48:49], v[80:81], -v[90:91]
	v_add_f64 v[56:57], v[58:59], v[60:61]
	v_fma_f64 v[58:59], v[34:35], s[6:7], v[10:11]
	v_add_f64 v[62:63], v[118:119], -v[102:103]
	v_fma_f64 v[10:11], v[44:45], s[16:17], v[26:27]
	v_add_f64 v[26:27], v[32:33], v[108:109]
	v_add_f64 v[32:33], v[118:119], v[124:125]
	v_add_f64 v[44:45], v[82:83], -v[84:85]
	v_add_f64 v[64:65], v[124:125], -v[108:109]
	v_fma_f64 v[54:55], v[56:57], s[6:7], v[54:55]
	v_fma_f64 v[40:41], v[34:35], s[6:7], v[40:41]
	;; [unrolled: 1-line block ×4, first 2 shown]
	v_add_f64 v[60:61], v[94:95], v[96:97]
	v_fma_f64 v[10:11], v[32:33], -0.5, v[12:13]
	v_add_f64 v[32:33], v[14:15], v[98:99]
	v_add_f64 v[62:63], v[62:63], v[64:65]
	v_fma_f64 v[42:43], v[48:49], s[14:15], v[42:43]
	v_add_f64 v[66:67], v[102:103], -v[118:119]
	v_add_f64 v[169:170], v[108:109], -v[124:125]
	v_add_f64 v[12:13], v[26:27], v[124:125]
	v_fma_f64 v[26:27], v[44:45], s[8:9], v[34:35]
	v_fma_f64 v[64:65], v[44:45], s[14:15], v[10:11]
	;; [unrolled: 1-line block ×3, first 2 shown]
	v_fma_f64 v[34:35], v[60:61], -0.5, v[14:15]
	v_add_f64 v[60:61], v[68:69], -v[72:73]
	v_add_f64 v[32:33], v[32:33], v[94:95]
	v_fma_f64 v[42:43], v[44:45], s[16:17], v[42:43]
	v_add_f64 v[66:67], v[66:67], v[169:170]
	v_add_f64 v[173:174], v[70:71], -v[18:19]
	v_add_f64 v[44:45], v[98:99], v[120:121]
	v_fma_f64 v[10:11], v[48:49], s[16:17], v[10:11]
	v_add_f64 v[175:176], v[98:99], -v[94:95]
	v_fma_f64 v[171:172], v[60:61], s[2:3], v[34:35]
	v_add_f64 v[177:178], v[120:121], -v[96:97]
	v_fma_f64 v[64:65], v[48:49], s[8:9], v[64:65]
	v_add_f64 v[32:33], v[32:33], v[96:97]
	v_fma_f64 v[26:27], v[62:63], s[6:7], v[26:27]
	v_fma_f64 v[42:43], v[62:63], s[6:7], v[42:43]
	;; [unrolled: 1-line block ×3, first 2 shown]
	v_add_f64 v[10:11], v[88:89], v[92:93]
	v_fma_f64 v[48:49], v[173:174], s[8:9], v[171:172]
	v_add_f64 v[171:172], v[86:87], v[122:123]
	v_fma_f64 v[14:15], v[44:45], -0.5, v[14:15]
	v_add_f64 v[169:170], v[175:176], v[177:178]
	v_fma_f64 v[44:45], v[66:67], s[6:7], v[64:65]
	v_add_f64 v[64:65], v[32:33], v[120:121]
	v_fma_f64 v[32:33], v[60:61], s[14:15], v[34:35]
	v_add_f64 v[66:67], v[94:95], -v[98:99]
	v_add_f64 v[175:176], v[96:97], -v[120:121]
	v_add_f64 v[177:178], v[8:9], v[86:87]
	v_fma_f64 v[10:11], v[10:11], -0.5, v[8:9]
	v_add_f64 v[179:180], v[74:75], -v[100:101]
	v_add_f64 v[181:182], v[78:79], -v[76:77]
	v_fma_f64 v[8:9], v[171:172], -0.5, v[8:9]
	v_fma_f64 v[34:35], v[173:174], s[14:15], v[14:15]
	v_fma_f64 v[14:15], v[173:174], s[2:3], v[14:15]
	;; [unrolled: 1-line block ×3, first 2 shown]
	v_add_f64 v[66:67], v[66:67], v[175:176]
	v_add_f64 v[171:172], v[177:178], v[88:89]
	v_fma_f64 v[173:174], v[179:180], s[2:3], v[10:11]
	v_add_f64 v[175:176], v[86:87], -v[88:89]
	v_add_f64 v[177:178], v[122:123], -v[92:93]
	v_fma_f64 v[10:11], v[179:180], s[14:15], v[10:11]
	v_fma_f64 v[183:184], v[181:182], s[14:15], v[8:9]
	v_add_f64 v[185:186], v[88:89], -v[86:87]
	v_add_f64 v[187:188], v[92:93], -v[122:123]
	v_fma_f64 v[8:9], v[181:182], s[2:3], v[8:9]
	v_fma_f64 v[34:35], v[60:61], s[8:9], v[34:35]
	;; [unrolled: 1-line block ×3, first 2 shown]
	v_add_f64 v[60:61], v[171:172], v[92:93]
	v_fma_f64 v[171:172], v[181:182], s[8:9], v[173:174]
	v_add_f64 v[173:174], v[175:176], v[177:178]
	v_fma_f64 v[10:11], v[181:182], s[16:17], v[10:11]
	v_fma_f64 v[175:176], v[179:180], s[8:9], v[183:184]
	v_add_f64 v[177:178], v[185:186], v[187:188]
	v_fma_f64 v[179:180], v[179:180], s[16:17], v[8:9]
	v_fma_f64 v[181:182], v[66:67], s[6:7], v[34:35]
	;; [unrolled: 1-line block ×3, first 2 shown]
	v_mov_b32_e32 v67, 3
	v_fma_f64 v[48:49], v[169:170], s[6:7], v[48:49]
	v_add_f64 v[60:61], v[60:61], v[122:123]
	v_fma_f64 v[8:9], v[173:174], s[6:7], v[171:172]
	v_mul_u32_u24_e32 v66, 0x168, v163
	v_lshlrev_b32_sdwa v163, v67, v164 dst_sel:DWORD dst_unused:UNUSED_PAD src0_sel:DWORD src1_sel:BYTE_0
	v_fma_f64 v[169:170], v[169:170], s[6:7], v[32:33]
	v_fma_f64 v[34:35], v[173:174], s[6:7], v[10:11]
	;; [unrolled: 1-line block ×4, first 2 shown]
	v_add3_u32 v163, 0, v66, v163
	ds_write2_b64 v163, v[38:39], v[50:51] offset1:9
	ds_write2_b64 v163, v[46:47], v[24:25] offset0:18 offset1:27
	ds_write_b64 v163, v[52:53] offset:288
	v_mul_u32_u24_e32 v24, 0x168, v165
	v_lshlrev_b32_sdwa v25, v67, v166 dst_sel:DWORD dst_unused:UNUSED_PAD src0_sel:DWORD src1_sel:BYTE_0
	v_add3_u32 v164, 0, v24, v25
	v_mul_u32_u24_e32 v24, 0x168, v167
	v_lshlrev_b32_sdwa v25, v67, v168 dst_sel:DWORD dst_unused:UNUSED_PAD src0_sel:DWORD src1_sel:BYTE_0
	v_add3_u32 v165, 0, v24, v25
	ds_write2_b64 v164, v[36:37], v[58:59] offset1:9
	ds_write2_b64 v164, v[54:55], v[56:57] offset0:18 offset1:27
	ds_write_b64 v164, v[40:41] offset:288
	ds_write2_b64 v165, v[12:13], v[26:27] offset1:9
	ds_write2_b64 v165, v[44:45], v[62:63] offset0:18 offset1:27
	ds_write_b64 v165, v[42:43] offset:288
	v_mul_u32_u24_e32 v12, 0x168, v249
	v_lshlrev_b32_sdwa v13, v67, v250 dst_sel:DWORD dst_unused:UNUSED_PAD src0_sel:DWORD src1_sel:BYTE_0
	v_add3_u32 v166, 0, v12, v13
	v_mul_u32_u24_e32 v12, 0x168, v251
	v_lshlrev_b32_e32 v13, 3, v252
	v_add3_u32 v167, 0, v12, v13
	ds_write2_b64 v166, v[64:65], v[48:49] offset1:9
	ds_write2_b64 v166, v[181:182], v[14:15] offset0:18 offset1:27
	ds_write_b64 v166, v[169:170] offset:288
	ds_write2_b64 v167, v[60:61], v[8:9] offset1:9
	ds_write2_b64 v167, v[10:11], v[32:33] offset0:18 offset1:27
	ds_write_b64 v167, v[34:35] offset:288
	s_waitcnt lgkmcnt(0)
	; wave barrier
	s_waitcnt lgkmcnt(0)
	ds_read2_b64 v[24:27], v155 offset1:63
	ds_read2_b64 v[12:15], v155 offset0:126 offset1:225
	ds_read2_b64 v[64:67], v162 offset0:66 offset1:129
	;; [unrolled: 1-line block ×9, first 2 shown]
	ds_read_b64 v[106:107], v155 offset:11808
                                        ; implicit-def: $vgpr104_vgpr105
	s_and_saveexec_b64 s[18:19], vcc
	s_cbranch_execz .LBB0_29
; %bb.28:
	v_add_u32_e32 v0, 0x500, v155
	ds_read2_b64 v[8:11], v0 offset0:29 offset1:254
	v_add_u32_e32 v0, 0x1380, v155
	ds_read2_b64 v[32:35], v0 offset0:15 offset1:240
	;; [unrolled: 2-line block ×3, first 2 shown]
	ds_read_b64 v[104:105], v155 offset:12312
.LBB0_29:
	s_or_b64 exec, exec, s[18:19]
	v_add_f64 v[160:161], v[134:135], v[132:133]
	v_add_f64 v[146:147], v[146:147], -v[148:149]
	v_add_f64 v[148:149], v[140:141], v[128:129]
	v_add_f64 v[168:169], v[28:29], v[140:141]
	v_add_f64 v[142:143], v[142:143], -v[144:145]
	v_add_f64 v[144:145], v[140:141], -v[134:135]
	;; [unrolled: 1-line block ×3, first 2 shown]
	v_add_f64 v[174:175], v[30:31], v[110:111]
	v_fma_f64 v[160:161], v[160:161], -0.5, v[28:29]
	v_add_f64 v[140:141], v[134:135], -v[140:141]
	v_fma_f64 v[28:29], v[148:149], -0.5, v[28:29]
	v_add_f64 v[172:173], v[132:133], -v[128:129]
	v_add_f64 v[148:149], v[112:113], v[114:115]
	v_add_f64 v[136:137], v[136:137], -v[138:139]
	v_add_f64 v[134:135], v[168:169], v[134:135]
	v_add_f64 v[144:145], v[144:145], v[170:171]
	v_fma_f64 v[138:139], v[146:147], s[14:15], v[160:161]
	v_fma_f64 v[160:161], v[146:147], s[2:3], v[160:161]
	;; [unrolled: 1-line block ×4, first 2 shown]
	v_add_f64 v[174:175], v[174:175], v[112:113]
	v_add_f64 v[168:169], v[110:111], v[116:117]
	;; [unrolled: 1-line block ×4, first 2 shown]
	v_fma_f64 v[134:135], v[142:143], s[16:17], v[138:139]
	v_fma_f64 v[138:139], v[142:143], s[8:9], v[160:161]
	v_fma_f64 v[142:143], v[148:149], -0.5, v[30:31]
	v_fma_f64 v[148:149], v[146:147], s[16:17], v[170:171]
	v_fma_f64 v[28:29], v[146:147], s[8:9], v[28:29]
	v_add_f64 v[146:147], v[174:175], v[114:115]
	v_add_f64 v[128:129], v[132:133], v[128:129]
	v_add_f64 v[126:127], v[126:127], -v[130:131]
	v_fma_f64 v[132:133], v[144:145], s[6:7], v[134:135]
	v_fma_f64 v[134:135], v[144:145], s[6:7], v[138:139]
	;; [unrolled: 1-line block ×5, first 2 shown]
	v_fma_f64 v[30:31], v[168:169], -0.5, v[30:31]
	v_add_f64 v[140:141], v[146:147], v[116:117]
	v_add_f64 v[144:145], v[110:111], -v[112:113]
	v_add_f64 v[146:147], v[116:117], -v[114:115]
	v_fma_f64 v[142:143], v[136:137], s[2:3], v[142:143]
	v_add_f64 v[148:149], v[20:21], v[80:81]
	v_fma_f64 v[138:139], v[126:127], s[16:17], v[138:139]
	v_add_f64 v[110:111], v[112:113], -v[110:111]
	v_fma_f64 v[168:169], v[126:127], s[2:3], v[30:31]
	v_add_f64 v[112:113], v[114:115], -v[116:117]
	v_fma_f64 v[30:31], v[126:127], s[14:15], v[30:31]
	v_add_f64 v[114:115], v[144:145], v[146:147]
	v_fma_f64 v[116:117], v[126:127], s[8:9], v[142:143]
	v_add_f64 v[126:127], v[148:149], v[82:83]
	v_add_f64 v[160:161], v[82:83], v[84:85]
	v_add_f64 v[118:119], v[118:119], -v[124:125]
	v_fma_f64 v[124:125], v[136:137], s[16:17], v[168:169]
	v_add_f64 v[110:111], v[110:111], v[112:113]
	v_add_f64 v[102:103], v[102:103], -v[108:109]
	v_fma_f64 v[112:113], v[114:115], s[6:7], v[138:139]
	v_fma_f64 v[114:115], v[114:115], s[6:7], v[116:117]
	v_add_f64 v[116:117], v[126:127], v[84:85]
	v_add_f64 v[126:127], v[80:81], v[90:91]
	v_fma_f64 v[142:143], v[160:161], -0.5, v[20:21]
	v_add_f64 v[138:139], v[80:81], -v[82:83]
	v_fma_f64 v[108:109], v[110:111], s[6:7], v[124:125]
	v_add_f64 v[124:125], v[70:71], v[18:19]
	v_add_f64 v[144:145], v[90:91], -v[84:85]
	v_fma_f64 v[30:31], v[136:137], s[8:9], v[30:31]
	v_add_f64 v[98:99], v[98:99], -v[120:121]
	v_fma_f64 v[20:21], v[126:127], -0.5, v[20:21]
	v_fma_f64 v[136:137], v[118:119], s[14:15], v[142:143]
	v_add_f64 v[126:127], v[22:23], v[68:69]
	v_add_f64 v[80:81], v[82:83], -v[80:81]
	v_fma_f64 v[124:125], v[124:125], -0.5, v[22:23]
	v_add_f64 v[120:121], v[138:139], v[144:145]
	v_add_f64 v[82:83], v[84:85], -v[90:91]
	v_fma_f64 v[30:31], v[110:111], s[6:7], v[30:31]
	v_fma_f64 v[138:139], v[102:103], s[2:3], v[20:21]
	;; [unrolled: 1-line block ×3, first 2 shown]
	v_add_f64 v[110:111], v[116:117], v[90:91]
	v_fma_f64 v[116:117], v[102:103], s[16:17], v[136:137]
	v_fma_f64 v[136:137], v[118:119], s[2:3], v[142:143]
	v_add_f64 v[84:85], v[126:127], v[70:71]
	v_fma_f64 v[90:91], v[98:99], s[14:15], v[124:125]
	v_add_f64 v[94:95], v[94:95], -v[96:97]
	v_add_f64 v[96:97], v[68:69], -v[70:71]
	;; [unrolled: 1-line block ×3, first 2 shown]
	v_fma_f64 v[138:139], v[118:119], s[16:17], v[138:139]
	v_add_f64 v[80:81], v[80:81], v[82:83]
	v_fma_f64 v[20:21], v[118:119], s[8:9], v[20:21]
	v_fma_f64 v[102:103], v[102:103], s[8:9], v[136:137]
	v_add_f64 v[136:137], v[68:69], v[72:73]
	v_add_f64 v[82:83], v[84:85], v[18:19]
	v_fma_f64 v[84:85], v[94:95], s[16:17], v[90:91]
	v_add_f64 v[90:91], v[96:97], v[126:127]
	v_fma_f64 v[96:97], v[120:121], s[6:7], v[116:117]
	v_fma_f64 v[116:117], v[80:81], s[6:7], v[138:139]
	;; [unrolled: 1-line block ×3, first 2 shown]
	v_add_f64 v[20:21], v[78:79], v[76:77]
	v_add_f64 v[68:69], v[70:71], -v[68:69]
	v_add_f64 v[70:71], v[74:75], v[100:101]
	v_fma_f64 v[22:23], v[136:137], -0.5, v[22:23]
	v_add_f64 v[82:83], v[82:83], v[72:73]
	v_add_f64 v[18:19], v[18:19], -v[72:73]
	v_add_f64 v[72:73], v[16:17], v[74:75]
	v_add_f64 v[86:87], v[86:87], -v[122:123]
	v_fma_f64 v[20:21], v[20:21], -0.5, v[16:17]
	v_fma_f64 v[118:119], v[98:99], s[2:3], v[124:125]
	v_add_f64 v[88:89], v[88:89], -v[92:93]
	v_fma_f64 v[16:17], v[70:71], -0.5, v[16:17]
	v_fma_f64 v[102:103], v[120:121], s[6:7], v[102:103]
	v_fma_f64 v[120:121], v[94:95], s[2:3], v[22:23]
	v_add_f64 v[18:19], v[68:69], v[18:19]
	v_fma_f64 v[22:23], v[94:95], s[14:15], v[22:23]
	v_add_f64 v[68:69], v[72:73], v[78:79]
	v_fma_f64 v[70:71], v[86:87], s[14:15], v[20:21]
	v_add_f64 v[72:73], v[74:75], -v[78:79]
	v_add_f64 v[92:93], v[100:101], -v[76:77]
	v_fma_f64 v[20:21], v[86:87], s[2:3], v[20:21]
	v_fma_f64 v[118:119], v[94:95], s[8:9], v[118:119]
	;; [unrolled: 1-line block ×3, first 2 shown]
	v_add_f64 v[74:75], v[78:79], -v[74:75]
	v_add_f64 v[78:79], v[76:77], -v[100:101]
	v_fma_f64 v[16:17], v[88:89], s[14:15], v[16:17]
	v_fma_f64 v[120:121], v[98:99], s[16:17], v[120:121]
	;; [unrolled: 1-line block ×3, first 2 shown]
	v_add_f64 v[68:69], v[68:69], v[76:77]
	v_fma_f64 v[70:71], v[88:89], s[16:17], v[70:71]
	v_add_f64 v[72:73], v[72:73], v[92:93]
	v_fma_f64 v[76:77], v[88:89], s[8:9], v[20:21]
	v_fma_f64 v[88:89], v[86:87], s[16:17], v[94:95]
	v_add_f64 v[74:75], v[74:75], v[78:79]
	v_fma_f64 v[16:17], v[86:87], s[8:9], v[16:17]
	v_fma_f64 v[86:87], v[18:19], s[6:7], v[120:121]
	;; [unrolled: 1-line block ×6, first 2 shown]
	v_add_u32_e32 v72, 0xc00, v155
	v_add_u32_e32 v77, 0x2800, v155
	v_fma_f64 v[78:79], v[90:91], s[6:7], v[118:119]
	v_add_f64 v[90:91], v[68:69], v[100:101]
	v_fma_f64 v[22:23], v[74:75], s[6:7], v[88:89]
	v_fma_f64 v[68:69], v[74:75], s[6:7], v[16:17]
	s_waitcnt lgkmcnt(0)
	; wave barrier
	s_waitcnt lgkmcnt(0)
	ds_write2_b64 v163, v[128:129], v[132:133] offset1:9
	ds_write2_b64 v163, v[130:131], v[28:29] offset0:18 offset1:27
	ds_write_b64 v163, v[134:135] offset:288
	ds_write2_b64 v164, v[140:141], v[112:113] offset1:9
	ds_write2_b64 v164, v[108:109], v[30:31] offset0:18 offset1:27
	ds_write_b64 v164, v[114:115] offset:288
	;; [unrolled: 3-line block ×5, first 2 shown]
	s_waitcnt lgkmcnt(0)
	; wave barrier
	s_waitcnt lgkmcnt(0)
	ds_read2_b64 v[28:31], v155 offset1:63
	ds_read2_b64 v[16:19], v155 offset0:126 offset1:225
	ds_read2_b64 v[100:103], v72 offset0:66 offset1:129
	v_add_u32_e32 v72, 0x1000, v155
	ds_read2_b64 v[92:95], v77 offset0:70 offset1:133
	v_add_u32_e32 v77, 0x800, v155
	;; [unrolled: 2-line block ×3, first 2 shown]
	v_add_u32_e32 v76, 0x2000, v155
	ds_read2_b64 v[88:91], v77 offset0:32 offset1:95
	v_add_u32_e32 v77, 0x1400, v155
	ds_read2_b64 v[96:99], v72 offset0:132 offset1:195
	ds_read2_b64 v[72:75], v76 offset0:2 offset1:101
	;; [unrolled: 1-line block ×4, first 2 shown]
	ds_read_b64 v[110:111], v155 offset:11808
                                        ; implicit-def: $vgpr108_vgpr109
	s_and_saveexec_b64 s[2:3], vcc
	s_cbranch_execz .LBB0_31
; %bb.30:
	v_add_u32_e32 v4, 0x500, v155
	ds_read2_b64 v[20:23], v4 offset0:29 offset1:254
	v_add_u32_e32 v4, 0x1380, v155
	ds_read2_b64 v[68:71], v4 offset0:15 offset1:240
	;; [unrolled: 2-line block ×3, first 2 shown]
	ds_read_b64 v[108:109], v155 offset:12312
.LBB0_31:
	s_or_b64 exec, exec, s[2:3]
	v_subrev_u32_e32 v112, 45, v154
	v_cmp_gt_u32_e64 s[2:3], 45, v154
	v_cndmask_b32_e64 v140, v112, v154, s[2:3]
	v_mul_i32_i24_e32 v112, 6, v140
	v_mov_b32_e32 v113, 0
	v_lshlrev_b64 v[112:113], 4, v[112:113]
	v_mov_b32_e32 v114, s13
	v_add_co_u32_e64 v116, s[2:3], s12, v112
	v_addc_co_u32_e64 v117, s[2:3], v114, v113, s[2:3]
	s_movk_i32 s2, 0x6d
	global_load_dwordx4 v[112:115], v[116:117], off offset:720
	global_load_dwordx4 v[126:129], v[116:117], off offset:704
	;; [unrolled: 1-line block ×6, first 2 shown]
	v_mul_lo_u16_sdwa v116, v156, s2 dst_sel:DWORD dst_unused:UNUSED_PAD src0_sel:BYTE_0 src1_sel:DWORD
	v_sub_u16_sdwa v117, v156, v116 dst_sel:DWORD dst_unused:UNUSED_PAD src0_sel:DWORD src1_sel:BYTE_1
	v_lshrrev_b16_e32 v117, 1, v117
	v_and_b32_e32 v117, 0x7f, v117
	v_add_u16_sdwa v116, v117, v116 dst_sel:DWORD dst_unused:UNUSED_PAD src0_sel:DWORD src1_sel:BYTE_1
	v_lshrrev_b16_e32 v141, 5, v116
	v_mul_lo_u16_e32 v116, 45, v141
	v_sub_u16_e32 v142, v156, v116
	v_mov_b32_e32 v116, 6
	v_mul_u32_u24_sdwa v117, v142, v116 dst_sel:DWORD dst_unused:UNUSED_PAD src0_sel:BYTE_0 src1_sel:DWORD
	v_lshlrev_b32_e32 v117, 4, v117
	global_load_dwordx4 v[160:163], v117, s[12:13] offset:672
	global_load_dwordx4 v[164:167], v117, s[12:13] offset:688
	;; [unrolled: 1-line block ×4, first 2 shown]
	v_mul_lo_u16_sdwa v118, v157, s2 dst_sel:DWORD dst_unused:UNUSED_PAD src0_sel:BYTE_0 src1_sel:DWORD
	v_sub_u16_sdwa v119, v157, v118 dst_sel:DWORD dst_unused:UNUSED_PAD src0_sel:DWORD src1_sel:BYTE_1
	global_load_dwordx4 v[176:179], v117, s[12:13] offset:752
	global_load_dwordx4 v[180:183], v117, s[12:13] offset:736
	v_lshrrev_b16_e32 v119, 1, v119
	v_and_b32_e32 v119, 0x7f, v119
	v_add_u16_sdwa v118, v119, v118 dst_sel:DWORD dst_unused:UNUSED_PAD src0_sel:DWORD src1_sel:BYTE_1
	v_lshrrev_b16_e32 v143, 5, v118
	v_mul_lo_u16_e32 v117, 45, v143
	v_sub_u16_e32 v144, v157, v117
	v_mul_u32_u24_sdwa v116, v144, v116 dst_sel:DWORD dst_unused:UNUSED_PAD src0_sel:BYTE_0 src1_sel:DWORD
	v_lshlrev_b32_e32 v116, 4, v116
	global_load_dwordx4 v[184:187], v116, s[12:13] offset:672
	global_load_dwordx4 v[188:191], v116, s[12:13] offset:688
	;; [unrolled: 1-line block ×4, first 2 shown]
	v_mul_lo_u16_sdwa v117, v158, s2 dst_sel:DWORD dst_unused:UNUSED_PAD src0_sel:BYTE_0 src1_sel:DWORD
	global_load_dwordx4 v[200:203], v116, s[12:13] offset:752
	global_load_dwordx4 v[204:207], v116, s[12:13] offset:736
	v_sub_u16_sdwa v118, v158, v117 dst_sel:DWORD dst_unused:UNUSED_PAD src0_sel:DWORD src1_sel:BYTE_1
	v_lshrrev_b16_e32 v116, 1, v118
	v_and_b32_e32 v116, 0x7f, v116
	v_add_u16_sdwa v116, v116, v117 dst_sel:DWORD dst_unused:UNUSED_PAD src0_sel:DWORD src1_sel:BYTE_1
	v_lshrrev_b16_e32 v116, 5, v116
	v_mul_lo_u16_e32 v116, 45, v116
	v_sub_u16_e32 v116, v158, v116
	v_and_b32_e32 v149, 0xff, v116
	v_mul_u32_u24_e32 v116, 6, v149
	v_lshlrev_b32_e32 v116, 4, v116
	global_load_dwordx4 v[208:211], v116, s[12:13] offset:672
	global_load_dwordx4 v[212:215], v116, s[12:13] offset:688
	;; [unrolled: 1-line block ×6, first 2 shown]
	s_mov_b32 s6, 0x36b3c0b5
	s_mov_b32 s16, 0xe976ee23
	;; [unrolled: 1-line block ×20, first 2 shown]
	v_cmp_lt_u32_e64 s[2:3], 44, v154
	s_waitcnt lgkmcnt(0)
	; wave barrier
	s_waitcnt vmcnt(23) lgkmcnt(0)
	v_mul_f64 v[232:233], v[96:97], v[114:115]
	s_waitcnt vmcnt(22)
	v_mul_f64 v[134:135], v[82:83], v[128:129]
	s_waitcnt vmcnt(21)
	;; [unrolled: 2-line block ×3, first 2 shown]
	v_mul_f64 v[116:117], v[18:19], v[132:133]
	v_mul_f64 v[118:119], v[14:15], v[132:133]
	;; [unrolled: 1-line block ×3, first 2 shown]
	s_waitcnt vmcnt(18)
	v_mul_f64 v[234:235], v[74:75], v[138:139]
	v_mul_f64 v[138:139], v[38:39], v[138:139]
	;; [unrolled: 1-line block ×6, first 2 shown]
	v_fma_f64 v[116:117], v[14:15], v[130:131], -v[116:117]
	v_fma_f64 v[122:123], v[18:19], v[130:131], v[118:119]
	s_waitcnt vmcnt(17)
	v_mul_f64 v[238:239], v[88:89], v[162:163]
	v_mul_f64 v[162:163], v[52:53], v[162:163]
	s_waitcnt vmcnt(15)
	v_mul_f64 v[242:243], v[84:85], v[170:171]
	v_fma_f64 v[118:119], v[64:65], v[120:121], -v[124:125]
	v_fma_f64 v[124:125], v[100:101], v[120:121], v[132:133]
	v_fma_f64 v[120:121], v[46:47], v[126:127], -v[134:135]
	v_fma_f64 v[134:135], v[38:39], v[136:137], -v[234:235]
	v_fma_f64 v[136:137], v[74:75], v[136:137], v[138:139]
	v_fma_f64 v[74:75], v[52:53], v[160:161], -v[238:239]
	v_mul_f64 v[14:15], v[48:49], v[170:171]
	s_waitcnt vmcnt(14)
	v_mul_f64 v[18:19], v[98:99], v[174:175]
	v_mul_f64 v[38:39], v[62:63], v[174:175]
	s_waitcnt vmcnt(12)
	v_mul_f64 v[46:47], v[76:77], v[182:183]
	v_mul_f64 v[52:53], v[94:95], v[178:179]
	v_fma_f64 v[126:127], v[82:83], v[126:127], v[128:129]
	v_fma_f64 v[128:129], v[60:61], v[112:113], -v[232:233]
	v_fma_f64 v[130:131], v[96:97], v[112:113], v[114:115]
	v_fma_f64 v[138:139], v[92:93], v[145:146], v[147:148]
	v_fma_f64 v[112:113], v[88:89], v[160:161], v[162:163]
	v_fma_f64 v[88:89], v[48:49], v[168:169], -v[242:243]
	v_mul_f64 v[48:49], v[40:41], v[182:183]
	v_fma_f64 v[100:101], v[84:85], v[168:169], v[14:15]
	v_fma_f64 v[84:85], v[62:63], v[172:173], -v[18:19]
	v_mul_f64 v[14:15], v[58:59], v[178:179]
	s_waitcnt vmcnt(11)
	v_mul_f64 v[18:19], v[90:91], v[186:187]
	v_fma_f64 v[98:99], v[98:99], v[172:173], v[38:39]
	v_fma_f64 v[92:93], v[40:41], v[180:181], -v[46:47]
	v_fma_f64 v[96:97], v[58:59], v[176:177], -v[52:53]
	v_mul_f64 v[38:39], v[54:55], v[186:187]
	s_waitcnt vmcnt(10)
	v_mul_f64 v[40:41], v[80:81], v[190:191]
	s_waitcnt vmcnt(9)
	v_mul_f64 v[52:53], v[86:87], v[194:195]
	v_fma_f64 v[132:133], v[56:57], v[145:146], -v[236:237]
	v_fma_f64 v[114:115], v[76:77], v[180:181], v[48:49]
	v_fma_f64 v[94:95], v[94:95], v[176:177], v[14:15]
	v_fma_f64 v[14:15], v[54:55], v[184:185], -v[18:19]
	v_mul_f64 v[48:49], v[44:45], v[190:191]
	v_mul_f64 v[56:57], v[50:51], v[194:195]
	s_waitcnt vmcnt(8)
	v_mul_f64 v[58:59], v[72:73], v[198:199]
	v_fma_f64 v[46:47], v[90:91], v[184:185], v[38:39]
	v_fma_f64 v[18:19], v[44:45], v[188:189], -v[40:41]
	v_mul_f64 v[44:45], v[36:37], v[198:199]
	s_waitcnt vmcnt(6)
	v_mul_f64 v[60:61], v[78:79], v[206:207]
	v_fma_f64 v[38:39], v[50:51], v[192:193], -v[52:53]
	v_mul_f64 v[50:51], v[110:111], v[202:203]
	v_mul_f64 v[240:241], v[102:103], v[166:167]
	v_fma_f64 v[54:55], v[80:81], v[188:189], v[48:49]
	v_fma_f64 v[40:41], v[86:87], v[192:193], v[56:57]
	v_fma_f64 v[36:37], v[36:37], v[196:197], -v[58:59]
	v_mul_f64 v[48:49], v[42:43], v[206:207]
	v_fma_f64 v[44:45], v[72:73], v[196:197], v[44:45]
	v_fma_f64 v[42:43], v[42:43], v[204:205], -v[60:61]
	v_mul_f64 v[56:57], v[106:107], v[202:203]
	s_waitcnt vmcnt(5)
	v_mul_f64 v[58:59], v[22:23], v[210:211]
	v_mul_f64 v[60:61], v[10:11], v[210:211]
	s_waitcnt vmcnt(4)
	v_mul_f64 v[62:63], v[68:69], v[214:215]
	v_fma_f64 v[52:53], v[106:107], v[200:201], -v[50:51]
	v_mul_f64 v[50:51], v[32:33], v[214:215]
	s_waitcnt vmcnt(3)
	v_mul_f64 v[72:73], v[70:71], v[218:219]
	v_mul_f64 v[166:167], v[66:67], v[166:167]
	v_fma_f64 v[82:83], v[66:67], v[164:165], -v[240:241]
	v_fma_f64 v[64:65], v[78:79], v[204:205], v[48:49]
	v_fma_f64 v[66:67], v[110:111], v[200:201], v[56:57]
	v_fma_f64 v[48:49], v[10:11], v[208:209], -v[58:59]
	v_fma_f64 v[56:57], v[22:23], v[208:209], v[60:61]
	v_fma_f64 v[22:23], v[32:33], v[212:213], -v[62:63]
	v_mul_f64 v[10:11], v[34:35], v[218:219]
	s_waitcnt vmcnt(2)
	v_mul_f64 v[32:33], v[4:5], v[222:223]
	v_fma_f64 v[58:59], v[68:69], v[212:213], v[50:51]
	v_fma_f64 v[50:51], v[34:35], v[216:217], -v[72:73]
	v_add_f64 v[34:35], v[116:117], v[132:133]
	v_add_f64 v[72:73], v[118:119], v[134:135]
	v_mul_f64 v[68:69], v[0:1], v[222:223]
	s_waitcnt vmcnt(0)
	v_mul_f64 v[76:77], v[6:7], v[230:231]
	v_fma_f64 v[60:61], v[70:71], v[216:217], v[10:11]
	v_fma_f64 v[62:63], v[0:1], v[220:221], -v[32:33]
	v_add_f64 v[0:1], v[124:125], -v[136:137]
	v_add_f64 v[10:11], v[120:121], v[128:129]
	v_add_f64 v[32:33], v[130:131], -v[126:127]
	v_add_f64 v[78:79], v[72:73], v[34:35]
	v_add_f64 v[90:91], v[72:73], -v[34:35]
	v_fma_f64 v[70:71], v[2:3], v[228:229], -v[76:77]
	v_add_f64 v[76:77], v[122:123], -v[138:139]
	v_fma_f64 v[102:103], v[102:103], v[164:165], v[166:167]
	v_fma_f64 v[68:69], v[4:5], v[220:221], v[68:69]
	v_add_f64 v[34:35], v[34:35], -v[10:11]
	v_add_f64 v[86:87], v[32:33], v[0:1]
	v_add_f64 v[78:79], v[10:11], v[78:79]
	v_add_f64 v[10:11], v[10:11], -v[72:73]
	v_add_f64 v[72:73], v[32:33], -v[0:1]
	v_add_f64 v[32:33], v[76:77], -v[32:33]
	v_add_f64 v[0:1], v[0:1], -v[76:77]
	v_mul_f64 v[2:3], v[2:3], v[230:231]
	v_mul_f64 v[34:35], v[34:35], s[8:9]
	v_add_f64 v[76:77], v[86:87], v[76:77]
	v_add_f64 v[24:25], v[24:25], v[78:79]
	v_mul_f64 v[86:87], v[10:11], s[6:7]
	v_mul_f64 v[72:73], v[72:73], s[16:17]
	;; [unrolled: 1-line block ×5, first 2 shown]
	v_fma_f64 v[10:11], v[10:11], s[6:7], v[34:35]
	v_fma_f64 v[34:35], v[90:91], s[22:23], -v[34:35]
	v_fma_f64 v[78:79], v[78:79], s[18:19], v[24:25]
	v_fma_f64 v[86:87], v[90:91], s[20:21], -v[86:87]
	v_fma_f64 v[0:1], v[0:1], s[14:15], -v[72:73]
	v_fma_f64 v[90:91], v[32:33], s[24:25], v[72:73]
	v_fma_f64 v[32:33], v[32:33], s[28:29], -v[106:107]
	v_add_f64 v[106:107], v[74:75], v[96:97]
	v_add_f64 v[110:111], v[82:83], v[92:93]
	v_fma_f64 v[72:73], v[6:7], v[228:229], v[2:3]
	v_add_f64 v[10:11], v[10:11], v[78:79]
	v_add_f64 v[86:87], v[86:87], v[78:79]
	v_fma_f64 v[0:1], v[76:77], s[26:27], v[0:1]
	v_add_f64 v[34:35], v[34:35], v[78:79]
	v_fma_f64 v[90:91], v[76:77], s[26:27], v[90:91]
	v_fma_f64 v[32:33], v[76:77], s[26:27], v[32:33]
	v_fma_f64 v[76:77], v[104:105], v[224:225], -v[4:5]
	v_fma_f64 v[78:79], v[108:109], v[224:225], v[80:81]
	v_add_f64 v[6:7], v[88:89], v[84:85]
	v_add_f64 v[80:81], v[110:111], v[106:107]
	v_add_f64 v[104:105], v[86:87], -v[0:1]
	v_add_f64 v[108:109], v[102:103], -v[114:115]
	;; [unrolled: 1-line block ×3, first 2 shown]
	v_add_f64 v[0:1], v[0:1], v[86:87]
	v_add_f64 v[86:87], v[112:113], -v[94:95]
	v_add_f64 v[2:3], v[90:91], v[10:11]
	v_add_f64 v[4:5], v[32:33], v[34:35]
	v_add_f64 v[32:33], v[34:35], -v[32:33]
	v_add_f64 v[10:11], v[10:11], -v[90:91]
	v_add_f64 v[34:35], v[6:7], v[80:81]
	v_add_f64 v[80:81], v[106:107], -v[6:7]
	v_add_f64 v[6:7], v[6:7], -v[110:111]
	;; [unrolled: 3-line block ×3, first 2 shown]
	v_add_f64 v[106:107], v[110:111], -v[106:107]
	v_add_f64 v[110:111], v[86:87], -v[145:146]
	v_add_f64 v[145:146], v[26:27], v[34:35]
	v_mul_f64 v[26:27], v[80:81], s[8:9]
	v_mul_f64 v[80:81], v[6:7], s[6:7]
	v_add_f64 v[86:87], v[90:91], v[86:87]
	v_mul_f64 v[90:91], v[147:148], s[16:17]
	v_mul_f64 v[147:148], v[108:109], s[14:15]
	v_add_f64 v[160:161], v[14:15], v[52:53]
	v_add_f64 v[162:163], v[18:19], v[42:43]
	v_fma_f64 v[34:35], v[34:35], s[18:19], v[145:146]
	v_fma_f64 v[6:7], v[6:7], s[6:7], v[26:27]
	v_fma_f64 v[80:81], v[106:107], s[20:21], -v[80:81]
	v_fma_f64 v[26:27], v[106:107], s[22:23], -v[26:27]
	v_fma_f64 v[106:107], v[110:111], s[24:25], v[90:91]
	v_fma_f64 v[90:91], v[108:109], s[14:15], -v[90:91]
	v_add_f64 v[108:109], v[38:39], v[36:37]
	v_add_f64 v[164:165], v[162:163], v[160:161]
	v_fma_f64 v[110:111], v[110:111], s[28:29], -v[147:148]
	v_add_f64 v[147:148], v[54:55], -v[64:65]
	v_add_f64 v[166:167], v[44:45], -v[40:41]
	;; [unrolled: 1-line block ×3, first 2 shown]
	v_add_f64 v[6:7], v[6:7], v[34:35]
	v_add_f64 v[80:81], v[80:81], v[34:35]
	;; [unrolled: 1-line block ×4, first 2 shown]
	v_add_f64 v[164:165], v[160:161], -v[108:109]
	v_add_f64 v[108:109], v[108:109], -v[162:163]
	;; [unrolled: 1-line block ×5, first 2 shown]
	v_add_f64 v[147:148], v[166:167], v[147:148]
	v_add_f64 v[166:167], v[168:169], -v[166:167]
	v_add_f64 v[12:13], v[12:13], v[34:35]
	v_mul_f64 v[162:163], v[164:165], s[8:9]
	v_mul_f64 v[164:165], v[108:109], s[6:7]
	;; [unrolled: 1-line block ×4, first 2 shown]
	v_fma_f64 v[106:107], v[86:87], s[26:27], v[106:107]
	v_add_f64 v[147:148], v[147:148], v[168:169]
	v_fma_f64 v[90:91], v[86:87], s[26:27], v[90:91]
	v_fma_f64 v[34:35], v[34:35], s[18:19], v[12:13]
	;; [unrolled: 1-line block ×3, first 2 shown]
	v_fma_f64 v[164:165], v[160:161], s[20:21], -v[164:165]
	v_fma_f64 v[160:161], v[160:161], s[22:23], -v[162:163]
	v_fma_f64 v[162:163], v[166:167], s[24:25], v[170:171]
	v_fma_f64 v[166:167], v[166:167], s[28:29], -v[174:175]
	v_fma_f64 v[168:169], v[172:173], s[14:15], -v[170:171]
	v_fma_f64 v[86:87], v[86:87], s[26:27], v[110:111]
	v_add_f64 v[110:111], v[106:107], v[6:7]
	v_add_f64 v[108:109], v[108:109], v[34:35]
	;; [unrolled: 1-line block ×4, first 2 shown]
	v_fma_f64 v[160:161], v[147:148], s[26:27], v[162:163]
	v_fma_f64 v[162:163], v[147:148], s[26:27], v[166:167]
	;; [unrolled: 1-line block ×3, first 2 shown]
	v_add_f64 v[6:7], v[6:7], -v[106:107]
	v_add_f64 v[166:167], v[86:87], v[26:27]
	v_add_f64 v[168:169], v[80:81], -v[90:91]
	v_add_f64 v[86:87], v[26:27], -v[86:87]
	v_mov_b32_e32 v26, 0x9d8
	v_add_f64 v[106:107], v[160:161], v[108:109]
	v_add_f64 v[170:171], v[162:163], v[34:35]
	v_add_f64 v[172:173], v[164:165], -v[147:148]
	v_add_f64 v[90:91], v[90:91], v[80:81]
	v_add_f64 v[147:148], v[147:148], v[164:165]
	v_add_f64 v[34:35], v[34:35], -v[162:163]
	v_cndmask_b32_e64 v26, 0, v26, s[2:3]
	v_lshlrev_b32_e32 v27, 3, v140
	v_add_f64 v[108:109], v[108:109], -v[160:161]
	v_add3_u32 v27, 0, v26, v27
	ds_write2_b64 v27, v[24:25], v[2:3] offset1:45
	ds_write2_b64 v27, v[4:5], v[104:105] offset0:90 offset1:135
	ds_write2_b64 v27, v[0:1], v[32:33] offset0:180 offset1:225
	ds_write_b64 v27, v[10:11] offset:2160
	v_mov_b32_e32 v1, 3
	v_mul_u32_u24_e32 v0, 0x9d8, v141
	v_lshlrev_b32_sdwa v2, v1, v142 dst_sel:DWORD dst_unused:UNUSED_PAD src0_sel:DWORD src1_sel:BYTE_0
	v_add3_u32 v80, 0, v0, v2
	v_mul_u32_u24_e32 v0, 0x9d8, v143
	v_lshlrev_b32_sdwa v1, v1, v144 dst_sel:DWORD dst_unused:UNUSED_PAD src0_sel:DWORD src1_sel:BYTE_0
	v_add3_u32 v81, 0, v0, v1
	v_lshl_add_u32 v26, v149, 3, 0
	ds_write2_b64 v80, v[145:146], v[110:111] offset1:45
	ds_write2_b64 v80, v[166:167], v[168:169] offset0:90 offset1:135
	ds_write2_b64 v80, v[90:91], v[86:87] offset0:180 offset1:225
	ds_write_b64 v80, v[6:7] offset:2160
	ds_write2_b64 v81, v[12:13], v[106:107] offset1:45
	ds_write2_b64 v81, v[170:171], v[172:173] offset0:90 offset1:135
	ds_write2_b64 v81, v[147:148], v[34:35] offset0:180 offset1:225
	ds_write_b64 v81, v[108:109] offset:2160
	s_and_saveexec_b64 s[2:3], vcc
	s_cbranch_execz .LBB0_33
; %bb.32:
	v_add_f64 v[0:1], v[22:23], v[70:71]
	v_add_f64 v[2:3], v[48:49], v[76:77]
	v_add_f64 v[4:5], v[68:69], -v[60:61]
	v_add_f64 v[6:7], v[58:59], -v[72:73]
	v_add_f64 v[10:11], v[50:51], v[62:63]
	v_add_f64 v[12:13], v[56:57], -v[78:79]
	v_add_f64 v[24:25], v[0:1], v[2:3]
	v_add_f64 v[32:33], v[4:5], -v[6:7]
	v_add_f64 v[34:35], v[2:3], -v[10:11]
	;; [unrolled: 1-line block ×4, first 2 shown]
	v_add_f64 v[6:7], v[4:5], v[6:7]
	v_add_f64 v[4:5], v[12:13], -v[4:5]
	v_add_f64 v[10:11], v[10:11], v[24:25]
	v_add_f64 v[0:1], v[0:1], -v[2:3]
	v_mul_f64 v[2:3], v[32:33], s[16:17]
	v_mul_f64 v[24:25], v[34:35], s[8:9]
	;; [unrolled: 1-line block ×4, first 2 shown]
	v_add_f64 v[6:7], v[6:7], v[12:13]
	v_add_f64 v[8:9], v[8:9], v[10:11]
	v_fma_f64 v[12:13], v[4:5], s[24:25], v[2:3]
	v_fma_f64 v[104:105], v[0:1], s[22:23], -v[24:25]
	v_fma_f64 v[4:5], v[4:5], s[28:29], -v[32:33]
	;; [unrolled: 1-line block ×4, first 2 shown]
	v_fma_f64 v[24:25], v[90:91], s[6:7], v[24:25]
	v_fma_f64 v[10:11], v[10:11], s[18:19], v[8:9]
	;; [unrolled: 1-line block ×5, first 2 shown]
	v_add_f64 v[6:7], v[104:105], v[10:11]
	v_add_f64 v[0:1], v[0:1], v[10:11]
	;; [unrolled: 1-line block ×3, first 2 shown]
	v_add_f64 v[24:25], v[6:7], -v[4:5]
	v_add_f64 v[32:33], v[0:1], -v[2:3]
	v_add_f64 v[34:35], v[12:13], v[10:11]
	v_add_f64 v[4:5], v[4:5], v[6:7]
	;; [unrolled: 1-line block ×3, first 2 shown]
	v_add_f64 v[2:3], v[10:11], -v[12:13]
	v_add_u32_e32 v6, 0x2400, v26
	v_add_u32_e32 v7, 0x2800, v26
	ds_write2_b64 v6, v[8:9], v[34:35] offset0:108 offset1:153
	ds_write2_b64 v7, v[4:5], v[32:33] offset0:70 offset1:115
	;; [unrolled: 1-line block ×3, first 2 shown]
	ds_write_b64 v26, v[2:3] offset:12240
.LBB0_33:
	s_or_b64 exec, exec, s[2:3]
	v_add_f64 v[0:1], v[122:123], v[138:139]
	v_add_f64 v[2:3], v[124:125], v[136:137]
	v_add_f64 v[4:5], v[118:119], -v[134:135]
	v_add_f64 v[6:7], v[126:127], v[130:131]
	v_add_f64 v[8:9], v[128:129], -v[120:121]
	v_add_f64 v[10:11], v[116:117], -v[132:133]
	v_add_f64 v[34:35], v[112:113], v[94:95]
	v_add_f64 v[90:91], v[102:103], v[114:115]
	v_add_f64 v[14:15], v[14:15], -v[52:53]
	v_add_f64 v[12:13], v[2:3], v[0:1]
	s_waitcnt lgkmcnt(0)
	v_add_f64 v[24:25], v[0:1], -v[6:7]
	v_add_f64 v[32:33], v[8:9], -v[4:5]
	v_add_f64 v[86:87], v[4:5], -v[10:11]
	v_add_f64 v[4:5], v[8:9], v[4:5]
	v_add_f64 v[8:9], v[10:11], -v[8:9]
	v_add_f64 v[0:1], v[2:3], -v[0:1]
	v_add_f64 v[12:13], v[6:7], v[12:13]
	v_add_f64 v[6:7], v[6:7], -v[2:3]
	v_mul_f64 v[24:25], v[24:25], s[8:9]
	v_mul_f64 v[32:33], v[32:33], s[16:17]
	;; [unrolled: 1-line block ×3, first 2 shown]
	v_add_f64 v[4:5], v[4:5], v[10:11]
	; wave barrier
	v_add_f64 v[102:103], v[28:29], v[12:13]
	v_mul_f64 v[2:3], v[6:7], s[6:7]
	v_fma_f64 v[6:7], v[6:7], s[6:7], v[24:25]
	v_fma_f64 v[10:11], v[8:9], s[24:25], v[32:33]
	v_fma_f64 v[28:29], v[86:87], s[14:15], -v[32:33]
	v_fma_f64 v[8:9], v[8:9], s[28:29], -v[94:95]
	;; [unrolled: 1-line block ×3, first 2 shown]
	v_add_f64 v[32:33], v[90:91], v[34:35]
	v_fma_f64 v[12:13], v[12:13], s[18:19], v[102:103]
	v_fma_f64 v[0:1], v[0:1], s[20:21], -v[2:3]
	v_add_f64 v[2:3], v[100:101], v[98:99]
	v_fma_f64 v[10:11], v[4:5], s[26:27], v[10:11]
	v_fma_f64 v[28:29], v[4:5], s[26:27], v[28:29]
	;; [unrolled: 1-line block ×3, first 2 shown]
	v_add_f64 v[6:7], v[6:7], v[12:13]
	v_add_f64 v[8:9], v[24:25], v[12:13]
	v_add_f64 v[0:1], v[0:1], v[12:13]
	v_add_f64 v[12:13], v[74:75], -v[96:97]
	v_add_f64 v[24:25], v[82:83], -v[92:93]
	;; [unrolled: 1-line block ×4, first 2 shown]
	v_add_f64 v[32:33], v[2:3], v[32:33]
	v_add_f64 v[84:85], v[6:7], -v[10:11]
	v_add_f64 v[86:87], v[8:9], -v[4:5]
	v_add_f64 v[88:89], v[28:29], v[0:1]
	v_add_f64 v[92:93], v[0:1], -v[28:29]
	v_add_f64 v[94:95], v[4:5], v[8:9]
	v_add_f64 v[96:97], v[10:11], v[6:7]
	v_add_f64 v[0:1], v[2:3], -v[90:91]
	v_add_f64 v[2:3], v[74:75], v[24:25]
	v_add_f64 v[4:5], v[74:75], -v[24:25]
	v_add_f64 v[6:7], v[24:25], -v[12:13]
	;; [unrolled: 1-line block ×4, first 2 shown]
	v_add_f64 v[74:75], v[30:31], v[32:33]
	v_mul_f64 v[24:25], v[82:83], s[8:9]
	v_mul_f64 v[28:29], v[0:1], s[6:7]
	v_add_f64 v[2:3], v[2:3], v[12:13]
	v_mul_f64 v[4:5], v[4:5], s[16:17]
	v_mul_f64 v[12:13], v[6:7], s[14:15]
	v_add_f64 v[30:31], v[46:47], v[66:67]
	v_add_f64 v[34:35], v[54:55], v[64:65]
	v_fma_f64 v[32:33], v[32:33], s[18:19], v[74:75]
	v_fma_f64 v[0:1], v[0:1], s[6:7], v[24:25]
	v_fma_f64 v[28:29], v[8:9], s[20:21], -v[28:29]
	v_fma_f64 v[8:9], v[8:9], s[22:23], -v[24:25]
	v_fma_f64 v[24:25], v[10:11], s[24:25], v[4:5]
	v_fma_f64 v[4:5], v[6:7], s[14:15], -v[4:5]
	v_add_f64 v[6:7], v[40:41], v[44:45]
	v_add_f64 v[40:41], v[34:35], v[30:31]
	v_fma_f64 v[10:11], v[10:11], s[28:29], -v[12:13]
	v_add_f64 v[12:13], v[18:19], -v[42:43]
	v_add_f64 v[18:19], v[36:37], -v[38:39]
	v_add_f64 v[0:1], v[0:1], v[32:33]
	v_add_f64 v[28:29], v[28:29], v[32:33]
	;; [unrolled: 1-line block ×3, first 2 shown]
	v_add_f64 v[36:37], v[30:31], -v[6:7]
	v_add_f64 v[32:33], v[6:7], v[40:41]
	v_add_f64 v[6:7], v[6:7], -v[34:35]
	v_add_f64 v[40:41], v[12:13], -v[14:15]
	;; [unrolled: 1-line block ×4, first 2 shown]
	v_add_f64 v[12:13], v[18:19], v[12:13]
	v_add_f64 v[18:19], v[14:15], -v[18:19]
	v_fma_f64 v[24:25], v[2:3], s[26:27], v[24:25]
	v_add_f64 v[82:83], v[16:17], v[32:33]
	v_mul_f64 v[16:17], v[36:37], s[8:9]
	v_mul_f64 v[34:35], v[6:7], s[6:7]
	;; [unrolled: 1-line block ×4, first 2 shown]
	v_add_f64 v[12:13], v[12:13], v[14:15]
	v_fma_f64 v[4:5], v[2:3], s[26:27], v[4:5]
	v_fma_f64 v[2:3], v[2:3], s[26:27], v[10:11]
	;; [unrolled: 1-line block ×4, first 2 shown]
	v_fma_f64 v[32:33], v[30:31], s[20:21], -v[34:35]
	v_fma_f64 v[16:17], v[30:31], s[22:23], -v[16:17]
	v_fma_f64 v[30:31], v[18:19], s[24:25], v[36:37]
	v_fma_f64 v[18:19], v[18:19], s[28:29], -v[38:39]
	v_fma_f64 v[34:35], v[40:41], s[14:15], -v[36:37]
	v_add_f64 v[90:91], v[0:1], -v[24:25]
	v_add_f64 v[108:109], v[24:25], v[0:1]
	v_add_f64 v[6:7], v[6:7], v[14:15]
	;; [unrolled: 1-line block ×4, first 2 shown]
	v_fma_f64 v[16:17], v[12:13], s[26:27], v[30:31]
	v_fma_f64 v[18:19], v[12:13], s[26:27], v[18:19]
	;; [unrolled: 1-line block ×3, first 2 shown]
	v_add_u32_e32 v24, 0x800, v155
	v_add_f64 v[98:99], v[8:9], -v[2:3]
	v_add_f64 v[100:101], v[4:5], v[28:29]
	v_add_f64 v[104:105], v[28:29], -v[4:5]
	v_add_f64 v[106:107], v[2:3], v[8:9]
	v_add_f64 v[110:111], v[6:7], -v[16:17]
	v_add_f64 v[112:113], v[14:15], -v[18:19]
	v_add_f64 v[114:115], v[12:13], v[10:11]
	v_add_f64 v[116:117], v[10:11], -v[12:13]
	v_add_u32_e32 v12, 0x1800, v155
	v_add_f64 v[118:119], v[18:19], v[14:15]
	v_add_f64 v[120:121], v[16:17], v[6:7]
	v_add_u32_e32 v4, 0x400, v155
	v_add_u32_e32 v8, 0x1000, v155
	ds_read2_b64 v[16:19], v12 offset0:114 offset1:177
	v_add_u32_e32 v12, 0x2400, v155
	ds_read2_b64 v[28:31], v24 offset0:122 offset1:185
	v_add_u32_e32 v24, 0x1c00, v155
	ds_read2_b64 v[0:3], v155 offset1:63
	ds_read2_b64 v[4:7], v4 offset0:124 offset1:187
	ds_read2_b64 v[8:11], v8 offset0:118 offset1:181
	;; [unrolled: 1-line block ×5, first 2 shown]
	v_add_u32_e32 v24, 0x1400, v155
	ds_read2_b64 v[64:67], v24 offset0:116 offset1:179
	v_add_u32_e32 v24, 0x2800, v155
	ds_read2_b64 v[52:55], v24 offset0:106 offset1:169
	;; [unrolled: 2-line block ×4, first 2 shown]
	ds_read_b64 v[24:25], v155 offset:12096
	s_waitcnt lgkmcnt(0)
	; wave barrier
	s_waitcnt lgkmcnt(0)
	ds_write2_b64 v27, v[102:103], v[84:85] offset1:45
	ds_write2_b64 v27, v[86:87], v[88:89] offset0:90 offset1:135
	ds_write2_b64 v27, v[92:93], v[94:95] offset0:180 offset1:225
	ds_write_b64 v27, v[96:97] offset:2160
	ds_write2_b64 v80, v[74:75], v[90:91] offset1:45
	ds_write2_b64 v80, v[98:99], v[100:101] offset0:90 offset1:135
	ds_write2_b64 v80, v[104:105], v[106:107] offset0:180 offset1:225
	ds_write_b64 v80, v[108:109] offset:2160
	;; [unrolled: 4-line block ×3, first 2 shown]
	s_and_saveexec_b64 s[2:3], vcc
	s_cbranch_execz .LBB0_35
; %bb.34:
	v_add_f64 v[56:57], v[56:57], v[78:79]
	v_add_f64 v[58:59], v[58:59], v[72:73]
	;; [unrolled: 1-line block ×3, first 2 shown]
	v_add_f64 v[50:51], v[62:63], -v[50:51]
	v_add_f64 v[22:23], v[22:23], -v[70:71]
	;; [unrolled: 1-line block ×3, first 2 shown]
	s_mov_b32 s8, 0x36b3c0b5
	s_mov_b32 s6, 0x37e14327
	;; [unrolled: 1-line block ×3, first 2 shown]
	v_add_f64 v[62:63], v[58:59], v[56:57]
	v_add_f64 v[68:69], v[56:57], -v[60:61]
	s_mov_b32 s7, 0x3fe948f6
	v_add_f64 v[70:71], v[50:51], v[22:23]
	v_add_f64 v[72:73], v[50:51], -v[22:23]
	v_add_f64 v[22:23], v[22:23], -v[48:49]
	s_mov_b32 s14, 0xe976ee23
	v_add_f64 v[56:57], v[58:59], -v[56:57]
	v_add_f64 v[62:63], v[60:61], v[62:63]
	v_add_f64 v[60:61], v[60:61], -v[58:59]
	s_mov_b32 s15, 0xbfe11646
	s_mov_b32 s16, 0x429ad128
	v_mul_f64 v[68:69], v[68:69], s[6:7]
	s_mov_b32 s17, 0x3febfeb5
	v_add_f64 v[50:51], v[48:49], -v[50:51]
	v_add_f64 v[48:49], v[70:71], v[48:49]
	v_add_f64 v[20:21], v[20:21], v[62:63]
	v_mul_f64 v[58:59], v[60:61], s[8:9]
	v_mul_f64 v[70:71], v[72:73], s[14:15]
	;; [unrolled: 1-line block ×3, first 2 shown]
	s_mov_b32 s7, 0x3fe77f67
	s_mov_b32 s6, 0x5476071b
	v_fma_f64 v[60:61], v[60:61], s[8:9], v[68:69]
	v_add_u32_e32 v27, 0x2400, v26
	v_fma_f64 v[62:63], v[62:63], s[18:19], v[20:21]
	v_fma_f64 v[58:59], v[56:57], s[6:7], -v[58:59]
	s_mov_b32 s7, 0xbfe77f67
	v_fma_f64 v[56:57], v[56:57], s[6:7], -v[68:69]
	s_mov_b32 s7, 0x3fd5d0dc
	s_mov_b32 s6, 0xb247c609
	v_fma_f64 v[68:69], v[50:51], s[6:7], v[70:71]
	s_mov_b32 s7, 0xbfd5d0dc
	v_fma_f64 v[50:51], v[50:51], s[6:7], -v[72:73]
	v_fma_f64 v[22:23], v[22:23], s[16:17], -v[70:71]
	s_mov_b32 s6, 0x37c3f68c
	s_mov_b32 s7, 0x3fdc38aa
	v_add_f64 v[60:61], v[60:61], v[62:63]
	v_add_f64 v[58:59], v[58:59], v[62:63]
	;; [unrolled: 1-line block ×3, first 2 shown]
	v_fma_f64 v[62:63], v[48:49], s[6:7], v[68:69]
	v_fma_f64 v[50:51], v[48:49], s[6:7], v[50:51]
	;; [unrolled: 1-line block ×3, first 2 shown]
	v_add_f64 v[48:49], v[60:61], -v[62:63]
	v_add_f64 v[68:69], v[56:57], -v[50:51]
	v_add_f64 v[70:71], v[22:23], v[58:59]
	v_add_f64 v[22:23], v[58:59], -v[22:23]
	v_add_f64 v[50:51], v[50:51], v[56:57]
	v_add_f64 v[56:57], v[62:63], v[60:61]
	ds_write2_b64 v27, v[20:21], v[48:49] offset0:108 offset1:153
	v_add_u32_e32 v20, 0x2800, v26
	ds_write2_b64 v20, v[68:69], v[70:71] offset0:70 offset1:115
	ds_write2_b64 v20, v[22:23], v[50:51] offset0:160 offset1:205
	ds_write_b64 v26, v[56:57] offset:12240
.LBB0_35:
	s_or_b64 exec, exec, s[2:3]
	s_waitcnt lgkmcnt(0)
	; wave barrier
	s_waitcnt lgkmcnt(0)
	s_and_saveexec_b64 s[2:3], s[0:1]
	s_cbranch_execz .LBB0_37
; %bb.36:
	v_lshlrev_b32_e32 v82, 2, v159
	v_mov_b32_e32 v83, 0
	v_lshlrev_b64 v[20:21], 4, v[82:83]
	v_mov_b32_e32 v86, s13
	v_add_co_u32_e32 v20, vcc, s12, v20
	v_addc_co_u32_e32 v21, vcc, v86, v21, vcc
	v_add_co_u32_e32 v26, vcc, 0x1380, v20
	v_addc_co_u32_e32 v27, vcc, 0, v21, vcc
	;; [unrolled: 2-line block ×3, first 2 shown]
	global_load_dwordx4 v[20:23], v[26:27], off offset:32
	global_load_dwordx4 v[48:51], v[26:27], off offset:16
	;; [unrolled: 1-line block ×4, first 2 shown]
	v_lshlrev_b32_e32 v82, 2, v158
	v_lshlrev_b64 v[26:27], 4, v[82:83]
	s_movk_i32 s13, 0x1000
	v_add_co_u32_e32 v68, vcc, s12, v26
	v_addc_co_u32_e32 v69, vcc, v86, v27, vcc
	v_add_co_u32_e32 v26, vcc, s13, v68
	s_movk_i32 s15, 0x1380
	v_addc_co_u32_e32 v27, vcc, 0, v69, vcc
	global_load_dwordx4 v[78:81], v[26:27], off offset:896
	v_add_co_u32_e32 v26, vcc, s15, v68
	v_addc_co_u32_e32 v27, vcc, 0, v69, vcc
	global_load_dwordx4 v[87:90], v[26:27], off offset:48
	v_mul_lo_u32 v103, s5, v152
	v_mul_lo_u32 v104, s4, v153
	v_mad_u64_u32 v[84:85], s[0:1], s4, v152, 0
	v_add_u32_e32 v70, 0x1800, v155
	v_add_u32_e32 v74, 0xc00, v155
	;; [unrolled: 1-line block ×3, first 2 shown]
	ds_read_b64 v[68:69], v155 offset:12096
	v_add_u32_e32 v76, 0x400, v155
	ds_read2_b64 v[70:73], v70 offset0:114 offset1:177
	ds_read2_b64 v[91:94], v74 offset0:120 offset1:183
	;; [unrolled: 1-line block ×4, first 2 shown]
	v_add_u32_e32 v82, 0x2800, v155
	ds_read2_b64 v[99:102], v82 offset0:106 offset1:169
	v_add3_u32 v85, v85, v104, v103
	global_load_dwordx4 v[103:106], v[26:27], off offset:32
	global_load_dwordx4 v[107:110], v[26:27], off offset:16
	s_mov_b32 s6, 0x134454ff
	s_mov_b32 s7, 0xbfee6f0e
	;; [unrolled: 1-line block ×8, first 2 shown]
	v_lshlrev_b32_e32 v82, 2, v157
	s_mov_b32 s0, 0x372fe950
	v_lshlrev_b64 v[111:112], 4, v[82:83]
	s_mov_b32 s1, 0x3fd3c6ef
	v_lshlrev_b32_e32 v82, 2, v156
	s_movk_i32 s14, 0x2000
	s_waitcnt vmcnt(7) lgkmcnt(2)
	v_mul_f64 v[113:114], v[22:23], v[97:98]
	s_waitcnt vmcnt(6)
	v_mul_f64 v[26:27], v[48:49], v[70:71]
	v_mul_f64 v[70:71], v[50:51], v[70:71]
	v_mul_f64 v[97:98], v[20:21], v[97:98]
	s_waitcnt vmcnt(5)
	v_mul_f64 v[115:116], v[56:57], v[93:94]
	s_waitcnt vmcnt(4)
	v_mul_f64 v[117:118], v[60:61], v[68:69]
	v_mul_f64 v[93:94], v[58:59], v[93:94]
	;; [unrolled: 1-line block ×3, first 2 shown]
	v_fma_f64 v[20:21], v[42:43], v[20:21], -v[113:114]
	v_fma_f64 v[26:27], v[16:17], v[50:51], v[26:27]
	v_fma_f64 v[16:17], v[16:17], v[48:49], -v[70:71]
	v_fma_f64 v[22:23], v[42:43], v[22:23], v[97:98]
	v_fma_f64 v[42:43], v[38:39], v[58:59], v[115:116]
	;; [unrolled: 1-line block ×3, first 2 shown]
	v_fma_f64 v[56:57], v[38:39], v[56:57], -v[93:94]
	v_fma_f64 v[58:59], v[24:25], v[60:61], -v[68:69]
	s_waitcnt vmcnt(3)
	v_mul_f64 v[48:49], v[78:79], v[91:92]
	v_add_f64 v[68:69], v[16:17], v[20:21]
	v_add_f64 v[38:39], v[26:27], v[22:23]
	v_add_f64 v[24:25], v[16:17], -v[20:21]
	v_add_f64 v[113:114], v[42:43], v[50:51]
	v_add_f64 v[70:71], v[26:27], -v[42:43]
	;; [unrolled: 2-line block ×3, first 2 shown]
	v_add_f64 v[97:98], v[56:57], -v[58:59]
	v_add_f64 v[115:116], v[42:43], -v[26:27]
	;; [unrolled: 1-line block ×3, first 2 shown]
	s_waitcnt lgkmcnt(1)
	v_add_f64 v[119:120], v[42:43], v[74:75]
	v_fma_f64 v[38:39], v[38:39], -0.5, v[74:75]
	v_fma_f64 v[131:132], v[68:69], -0.5, v[4:5]
	;; [unrolled: 1-line block ×3, first 2 shown]
	v_add_f64 v[62:63], v[26:27], -v[22:23]
	v_fma_f64 v[74:75], v[125:126], -0.5, v[4:5]
	v_add_f64 v[127:128], v[42:43], -v[50:51]
	v_add_f64 v[42:43], v[56:57], -v[16:17]
	;; [unrolled: 1-line block ×3, first 2 shown]
	v_add_f64 v[70:71], v[70:71], v[93:94]
	v_add_f64 v[93:94], v[115:116], v[117:118]
	;; [unrolled: 1-line block ×3, first 2 shown]
	v_fma_f64 v[113:114], v[97:98], s[8:9], v[38:39]
	v_fma_f64 v[38:39], v[97:98], s[6:7], v[38:39]
	;; [unrolled: 1-line block ×4, first 2 shown]
	v_add_f64 v[121:122], v[16:17], -v[56:57]
	v_add_f64 v[123:124], v[20:21], -v[58:59]
	v_fma_f64 v[117:118], v[62:63], s[8:9], v[74:75]
	v_add_f64 v[129:130], v[42:43], v[129:130]
	v_add_f64 v[22:23], v[22:23], v[26:27]
	v_fma_f64 v[26:27], v[62:63], s[6:7], v[74:75]
	v_fma_f64 v[42:43], v[24:25], s[2:3], v[113:114]
	;; [unrolled: 1-line block ×5, first 2 shown]
	v_add_f64 v[133:134], v[121:122], v[123:124]
	v_fma_f64 v[74:75], v[127:128], s[4:5], v[117:118]
	v_add_f64 v[50:51], v[50:51], v[22:23]
	v_fma_f64 v[135:136], v[127:128], s[2:3], v[26:27]
	v_fma_f64 v[22:23], v[93:94], s[0:1], v[42:43]
	;; [unrolled: 1-line block ×5, first 2 shown]
	v_add_co_u32_e32 v70, vcc, s12, v111
	v_addc_co_u32_e32 v71, vcc, v86, v112, vcc
	v_add_co_u32_e32 v68, vcc, s13, v70
	v_addc_co_u32_e32 v69, vcc, 0, v71, vcc
	v_fma_f64 v[24:25], v[133:134], s[0:1], v[74:75]
	v_add_co_u32_e32 v74, vcc, s15, v70
	v_addc_co_u32_e32 v75, vcc, 0, v71, vcc
	global_load_dwordx4 v[111:114], v[68:69], off offset:896
	global_load_dwordx4 v[115:118], v[74:75], off offset:48
	v_add_u32_e32 v68, 0x1400, v155
	ds_read2_b64 v[68:71], v68 offset0:116 offset1:179
	global_load_dwordx4 v[119:122], v[74:75], off offset:32
	global_load_dwordx4 v[123:126], v[74:75], off offset:16
	s_waitcnt vmcnt(6) lgkmcnt(1)
	v_mul_f64 v[60:61], v[87:88], v[101:102]
	v_fma_f64 v[97:98], v[127:128], s[6:7], v[131:132]
	v_fma_f64 v[74:75], v[127:128], s[8:9], v[131:132]
	;; [unrolled: 1-line block ×3, first 2 shown]
	s_waitcnt vmcnt(4) lgkmcnt(0)
	v_mul_f64 v[48:49], v[109:110], v[70:71]
	v_mul_f64 v[127:128], v[105:106], v[95:96]
	v_add_f64 v[4:5], v[4:5], v[56:57]
	v_mul_f64 v[56:57], v[107:108], v[70:71]
	v_fma_f64 v[60:61], v[54:55], v[89:90], v[60:61]
	v_mul_f64 v[70:71], v[103:104], v[95:96]
	v_mul_f64 v[80:81], v[80:81], v[91:92]
	;; [unrolled: 1-line block ×3, first 2 shown]
	v_fma_f64 v[131:132], v[66:67], v[107:108], -v[48:49]
	v_fma_f64 v[127:128], v[40:41], v[103:104], -v[127:128]
	v_add_f64 v[4:5], v[16:17], v[4:5]
	v_fma_f64 v[16:17], v[66:67], v[109:110], v[56:57]
	v_add_f64 v[101:102], v[93:94], v[60:61]
	v_fma_f64 v[56:57], v[40:41], v[105:106], v[70:71]
	ds_read2_b64 v[89:92], v155 offset0:126 offset1:189
	v_fma_f64 v[78:79], v[36:37], v[78:79], -v[80:81]
	v_fma_f64 v[80:81], v[54:55], v[87:88], -v[95:96]
	v_add_f64 v[66:67], v[131:132], -v[127:128]
	v_fma_f64 v[40:41], v[62:63], s[4:5], v[97:98]
	v_fma_f64 v[48:49], v[62:63], s[2:3], v[74:75]
	s_waitcnt lgkmcnt(0)
	v_fma_f64 v[54:55], v[101:102], -0.5, v[91:92]
	v_add_f64 v[4:5], v[4:5], v[20:21]
	v_add_f64 v[62:63], v[16:17], -v[93:94]
	v_add_f64 v[70:71], v[56:57], -v[60:61]
	v_add_f64 v[87:88], v[16:17], v[56:57]
	v_add_f64 v[97:98], v[78:79], v[80:81]
	v_add_f64 v[74:75], v[78:79], -v[80:81]
	v_fma_f64 v[20:21], v[129:130], s[0:1], v[40:41]
	v_fma_f64 v[95:96], v[66:67], s[6:7], v[54:55]
	;; [unrolled: 1-line block ×3, first 2 shown]
	v_add_f64 v[48:49], v[4:5], v[58:59]
	v_add_f64 v[4:5], v[62:63], v[70:71]
	v_fma_f64 v[58:59], v[87:88], -0.5, v[91:92]
	v_add_f64 v[70:71], v[93:94], v[91:92]
	v_fma_f64 v[54:55], v[66:67], s[8:9], v[54:55]
	v_fma_f64 v[87:88], v[97:98], -0.5, v[46:47]
	v_add_f64 v[101:102], v[16:17], -v[56:57]
	v_fma_f64 v[62:63], v[74:75], s[2:3], v[95:96]
	v_add_f64 v[91:92], v[93:94], -v[16:17]
	v_add_f64 v[95:96], v[60:61], -v[56:57]
	v_fma_f64 v[97:98], v[74:75], s[8:9], v[58:59]
	v_fma_f64 v[58:59], v[74:75], s[6:7], v[58:59]
	v_add_f64 v[16:17], v[16:17], v[70:71]
	v_fma_f64 v[54:55], v[74:75], s[4:5], v[54:55]
	v_add_f64 v[70:71], v[131:132], -v[78:79]
	v_add_f64 v[103:104], v[127:128], -v[80:81]
	v_fma_f64 v[105:106], v[101:102], s[8:9], v[87:88]
	v_add_f64 v[107:108], v[93:94], -v[60:61]
	v_add_f64 v[74:75], v[91:92], v[95:96]
	v_fma_f64 v[91:92], v[66:67], s[2:3], v[97:98]
	v_fma_f64 v[66:67], v[66:67], s[4:5], v[58:59]
	v_add_f64 v[16:17], v[56:57], v[16:17]
	v_add_f64 v[56:57], v[131:132], v[127:128]
	v_fma_f64 v[58:59], v[4:5], s[0:1], v[62:63]
	v_fma_f64 v[62:63], v[4:5], s[0:1], v[54:55]
	;; [unrolled: 1-line block ×3, first 2 shown]
	v_add_f64 v[103:104], v[70:71], v[103:104]
	v_fma_f64 v[93:94], v[107:108], s[4:5], v[105:106]
	v_fma_f64 v[54:55], v[74:75], s[0:1], v[91:92]
	v_fma_f64 v[66:67], v[74:75], s[0:1], v[66:67]
	v_fma_f64 v[74:75], v[56:57], -0.5, v[46:47]
	v_add_f64 v[70:71], v[60:61], v[16:17]
	v_add_u32_e32 v16, 0x800, v155
	v_fma_f64 v[4:5], v[107:108], s[2:3], v[4:5]
	v_add_f64 v[87:88], v[80:81], -v[127:128]
	v_fma_f64 v[56:57], v[103:104], s[0:1], v[93:94]
	ds_read2_b64 v[91:94], v16 offset0:122 offset1:185
	v_add_f64 v[16:17], v[78:79], -v[131:132]
	v_add_u32_e32 v60, 0x1c00, v155
	v_fma_f64 v[105:106], v[107:108], s[6:7], v[74:75]
	ds_read2_b64 v[95:98], v60 offset0:112 offset1:175
	s_waitcnt vmcnt(3) lgkmcnt(1)
	v_mul_f64 v[109:110], v[111:112], v[93:94]
	s_waitcnt vmcnt(2)
	v_mul_f64 v[129:130], v[115:116], v[99:100]
	v_fma_f64 v[60:61], v[103:104], s[0:1], v[4:5]
	v_fma_f64 v[4:5], v[107:108], s[8:9], v[74:75]
	s_waitcnt vmcnt(0)
	v_mul_f64 v[74:75], v[123:124], v[68:69]
	v_mul_f64 v[68:69], v[125:126], v[68:69]
	v_add_f64 v[16:17], v[16:17], v[87:88]
	s_waitcnt lgkmcnt(0)
	v_mul_f64 v[87:88], v[119:120], v[97:98]
	v_fma_f64 v[36:37], v[133:134], s[0:1], v[135:136]
	v_fma_f64 v[109:110], v[30:31], v[113:114], v[109:110]
	;; [unrolled: 1-line block ×5, first 2 shown]
	v_fma_f64 v[135:136], v[64:65], v[123:124], -v[68:69]
	v_mul_f64 v[64:65], v[121:122], v[97:98]
	v_lshlrev_b64 v[68:69], 4, v[82:83]
	v_fma_f64 v[4:5], v[101:102], s[2:3], v[4:5]
	v_add_co_u32_e32 v82, vcc, s12, v68
	v_addc_co_u32_e32 v101, vcc, v86, v69, vcc
	v_add_co_u32_e32 v68, vcc, s13, v82
	v_addc_co_u32_e32 v69, vcc, 0, v101, vcc
	v_add_f64 v[46:47], v[46:47], v[78:79]
	v_fma_f64 v[78:79], v[34:35], v[121:122], v[87:88]
	v_mul_f64 v[87:88], v[113:114], v[93:94]
	v_mul_f64 v[93:94], v[117:118], v[99:100]
	global_load_dwordx4 v[97:100], v[68:69], off offset:896
	v_add_co_u32_e32 v68, vcc, s15, v82
	v_addc_co_u32_e32 v69, vcc, 0, v101, vcc
	v_add_f64 v[113:114], v[109:110], v[129:130]
	global_load_dwordx4 v[101:104], v[68:69], off offset:48
	v_fma_f64 v[137:138], v[34:35], v[119:120], -v[64:65]
	global_load_dwordx4 v[105:108], v[68:69], off offset:32
	global_load_dwordx4 v[117:120], v[68:69], off offset:16
	v_add_f64 v[34:35], v[131:132], v[46:47]
	v_fma_f64 v[125:126], v[30:31], v[111:112], -v[87:88]
	v_fma_f64 v[139:140], v[52:53], v[115:116], -v[93:94]
	v_add_f64 v[30:31], v[74:75], -v[109:110]
	v_add_f64 v[46:47], v[78:79], -v[129:130]
	v_fma_f64 v[68:69], v[113:114], -0.5, v[89:90]
	v_add_f64 v[87:88], v[74:75], v[78:79]
	v_add_f64 v[93:94], v[135:136], -v[137:138]
	v_fma_f64 v[52:53], v[16:17], s[0:1], v[133:134]
	v_fma_f64 v[64:65], v[16:17], s[0:1], v[4:5]
	v_add_f64 v[16:17], v[34:35], v[127:128]
	v_add_f64 v[34:35], v[125:126], -v[139:140]
	v_add_f64 v[30:31], v[30:31], v[46:47]
	v_add_f64 v[4:5], v[125:126], v[139:140]
	v_fma_f64 v[46:47], v[87:88], -0.5, v[89:90]
	v_fma_f64 v[87:88], v[93:94], s[6:7], v[68:69]
	v_fma_f64 v[68:69], v[93:94], s[8:9], v[68:69]
	v_add_f64 v[89:90], v[109:110], v[89:90]
	v_add_f64 v[111:112], v[109:110], -v[74:75]
	v_add_f64 v[113:114], v[129:130], -v[78:79]
	;; [unrolled: 1-line block ×4, first 2 shown]
	v_fma_f64 v[115:116], v[34:35], s[8:9], v[46:47]
	v_fma_f64 v[87:88], v[34:35], s[2:3], v[87:88]
	;; [unrolled: 1-line block ×4, first 2 shown]
	v_add_f64 v[68:69], v[16:17], v[80:81]
	v_add_f64 v[74:75], v[74:75], v[89:90]
	v_add_f64 v[89:90], v[135:136], -v[125:126]
	v_lshlrev_b32_e32 v82, 2, v154
	v_fma_f64 v[4:5], v[4:5], -0.5, v[44:45]
	v_fma_f64 v[80:81], v[30:31], s[0:1], v[87:88]
	v_add_f64 v[87:88], v[135:136], v[137:138]
	v_add_f64 v[141:142], v[109:110], -v[129:130]
	v_add_f64 v[109:110], v[111:112], v[113:114]
	v_fma_f64 v[111:112], v[93:94], s[2:3], v[115:116]
	v_fma_f64 v[46:47], v[93:94], s[4:5], v[46:47]
	v_add_f64 v[143:144], v[89:90], v[121:122]
	v_fma_f64 v[123:124], v[133:134], s[8:9], v[4:5]
	v_fma_f64 v[30:31], v[30:31], s[0:1], v[34:35]
	v_fma_f64 v[127:128], v[87:88], -0.5, v[44:45]
	v_lshlrev_b64 v[87:88], 4, v[82:83]
	v_add_f64 v[74:75], v[78:79], v[74:75]
	v_add_co_u32_e32 v82, vcc, s12, v87
	v_addc_co_u32_e32 v87, vcc, v86, v88, vcc
	v_add_co_u32_e32 v121, vcc, s15, v82
	v_addc_co_u32_e32 v122, vcc, 0, v87, vcc
	;; [unrolled: 2-line block ×3, first 2 shown]
	v_fma_f64 v[16:17], v[109:110], s[0:1], v[111:112]
	v_fma_f64 v[34:35], v[109:110], s[0:1], v[46:47]
	global_load_dwordx4 v[86:89], v[86:87], off offset:896
	s_nop 0
	global_load_dwordx4 v[109:112], v[121:122], off offset:48
	v_fma_f64 v[78:79], v[141:142], s[4:5], v[123:124]
	global_load_dwordx4 v[113:116], v[121:122], off offset:32
	s_nop 0
	global_load_dwordx4 v[121:124], v[121:122], off offset:16
	v_add_f64 v[46:47], v[129:130], v[74:75]
	v_fma_f64 v[4:5], v[133:134], s[6:7], v[4:5]
	v_add_f64 v[74:75], v[125:126], -v[135:136]
	v_add_f64 v[93:94], v[139:140], -v[137:138]
	v_fma_f64 v[145:146], v[141:142], s[6:7], v[127:128]
	v_fma_f64 v[147:148], v[141:142], s[8:9], v[127:128]
	v_add_u32_e32 v82, 0x2400, v155
	v_add_f64 v[44:45], v[44:45], v[125:126]
	ds_read2_b64 v[125:128], v82 offset0:108 offset1:171
	v_add_u32_e32 v82, 0x1000, v155
	ds_read2_b64 v[129:132], v82 offset0:118 offset1:181
	s_waitcnt vmcnt(7)
	v_mul_f64 v[152:153], v[97:98], v[91:92]
	v_fma_f64 v[4:5], v[141:142], s[2:3], v[4:5]
	v_add_f64 v[74:75], v[74:75], v[93:94]
	v_fma_f64 v[145:146], v[133:134], s[4:5], v[145:146]
	v_fma_f64 v[133:134], v[133:134], s[2:3], v[147:148]
	v_add_f64 v[44:45], v[135:136], v[44:45]
	s_waitcnt vmcnt(6) lgkmcnt(1)
	v_mul_f64 v[141:142], v[101:102], v[127:128]
	s_waitcnt vmcnt(5)
	v_mul_f64 v[147:148], v[105:106], v[95:96]
	s_waitcnt vmcnt(4) lgkmcnt(0)
	v_mul_f64 v[93:94], v[117:118], v[131:132]
	v_fma_f64 v[135:136], v[28:29], v[99:100], v[152:153]
	v_mul_f64 v[131:132], v[119:120], v[131:132]
	v_mul_f64 v[95:96], v[107:108], v[95:96]
	;; [unrolled: 1-line block ×3, first 2 shown]
	v_add_f64 v[44:45], v[44:45], v[137:138]
	v_fma_f64 v[141:142], v[14:15], v[103:104], v[141:142]
	v_mul_f64 v[103:104], v[103:104], v[127:128]
	v_fma_f64 v[119:120], v[10:11], v[119:120], v[93:94]
	v_fma_f64 v[107:108], v[32:33], v[107:108], v[147:148]
	v_fma_f64 v[117:118], v[10:11], v[117:118], -v[131:132]
	v_fma_f64 v[105:106], v[32:33], v[105:106], -v[95:96]
	;; [unrolled: 1-line block ×3, first 2 shown]
	ds_read2_b64 v[90:93], v155 offset1:63
	v_add_f64 v[127:128], v[135:136], v[141:142]
	v_fma_f64 v[100:101], v[14:15], v[101:102], -v[103:104]
	v_add_f64 v[10:11], v[119:120], -v[135:136]
	v_add_f64 v[94:95], v[119:120], v[107:108]
	v_add_f64 v[98:99], v[107:108], -v[141:142]
	v_fma_f64 v[28:29], v[143:144], s[0:1], v[4:5]
	v_fma_f64 v[14:15], v[74:75], s[0:1], v[145:146]
	;; [unrolled: 1-line block ×3, first 2 shown]
	s_waitcnt lgkmcnt(0)
	v_fma_f64 v[102:103], v[127:128], -0.5, v[92:93]
	v_add_f64 v[127:128], v[117:118], -v[105:106]
	v_add_f64 v[4:5], v[96:97], -v[100:101]
	v_fma_f64 v[74:75], v[94:95], -0.5, v[92:93]
	v_add_f64 v[10:11], v[10:11], v[98:99]
	v_add_f64 v[98:99], v[96:97], v[100:101]
	;; [unrolled: 1-line block ×4, first 2 shown]
	v_add_f64 v[131:132], v[135:136], -v[119:120]
	v_fma_f64 v[94:95], v[127:128], s[6:7], v[102:103]
	v_fma_f64 v[102:103], v[127:128], s[8:9], v[102:103]
	v_add_f64 v[133:134], v[141:142], -v[107:108]
	v_fma_f64 v[137:138], v[4:5], s[8:9], v[74:75]
	v_fma_f64 v[74:75], v[4:5], s[6:7], v[74:75]
	v_fma_f64 v[98:99], v[98:99], -0.5, v[2:3]
	v_add_f64 v[139:140], v[119:120], -v[107:108]
	v_add_f64 v[92:93], v[119:120], v[92:93]
	v_fma_f64 v[94:95], v[4:5], s[2:3], v[94:95]
	v_fma_f64 v[4:5], v[4:5], s[4:5], v[102:103]
	v_add_f64 v[102:103], v[131:132], v[133:134]
	v_fma_f64 v[131:132], v[127:128], s[2:3], v[137:138]
	v_fma_f64 v[74:75], v[127:128], s[4:5], v[74:75]
	v_add_f64 v[119:120], v[117:118], -v[96:97]
	v_add_f64 v[127:128], v[105:106], -v[100:101]
	v_fma_f64 v[133:134], v[139:140], s[8:9], v[98:99]
	v_add_f64 v[135:136], v[135:136], -v[141:142]
	v_add_f64 v[92:93], v[107:108], v[92:93]
	v_fma_f64 v[94:95], v[10:11], s[0:1], v[94:95]
	v_fma_f64 v[4:5], v[10:11], s[0:1], v[4:5]
	v_fma_f64 v[10:11], v[102:103], s[0:1], v[131:132]
	v_add_f64 v[131:132], v[117:118], v[105:106]
	v_fma_f64 v[74:75], v[102:103], s[0:1], v[74:75]
	v_add_f64 v[102:103], v[119:120], v[127:128]
	v_fma_f64 v[107:108], v[135:136], s[4:5], v[133:134]
	v_fma_f64 v[119:120], v[139:140], s[6:7], v[98:99]
	v_add_f64 v[98:99], v[141:142], v[92:93]
	s_waitcnt vmcnt(3)
	v_mul_f64 v[137:138], v[86:87], v[76:77]
	s_waitcnt vmcnt(2)
	v_mul_f64 v[141:142], v[109:110], v[125:126]
	v_fma_f64 v[78:79], v[143:144], s[0:1], v[78:79]
	v_add_f64 v[127:128], v[96:97], -v[117:118]
	v_add_f64 v[133:134], v[100:101], -v[105:106]
	v_fma_f64 v[131:132], v[131:132], -0.5, v[2:3]
	v_fma_f64 v[92:93], v[102:103], s[0:1], v[107:108]
	v_fma_f64 v[107:108], v[135:136], s[2:3], v[119:120]
	s_waitcnt vmcnt(0)
	v_mul_f64 v[119:120], v[121:122], v[129:130]
	v_mul_f64 v[143:144], v[113:114], v[72:73]
	v_fma_f64 v[137:138], v[6:7], v[88:89], v[137:138]
	v_fma_f64 v[141:142], v[12:13], v[111:112], v[141:142]
	v_mul_f64 v[129:130], v[123:124], v[129:130]
	v_mul_f64 v[72:73], v[115:116], v[72:73]
	;; [unrolled: 1-line block ×3, first 2 shown]
	v_add_f64 v[127:128], v[127:128], v[133:134]
	v_fma_f64 v[133:134], v[135:136], s[6:7], v[131:132]
	v_fma_f64 v[119:120], v[8:9], v[123:124], v[119:120]
	v_mul_f64 v[88:89], v[111:112], v[125:126]
	v_fma_f64 v[111:112], v[18:19], v[115:116], v[143:144]
	v_add_f64 v[123:124], v[137:138], v[141:142]
	v_fma_f64 v[121:122], v[8:9], v[121:122], -v[129:130]
	v_fma_f64 v[18:19], v[18:19], v[113:114], -v[72:73]
	;; [unrolled: 1-line block ×3, first 2 shown]
	v_add_f64 v[86:87], v[2:3], v[96:97]
	v_fma_f64 v[115:116], v[139:140], s[4:5], v[133:134]
	v_fma_f64 v[12:13], v[12:13], v[109:110], -v[88:89]
	v_add_f64 v[76:77], v[119:120], v[111:112]
	v_fma_f64 v[2:3], v[102:103], s[0:1], v[107:108]
	v_fma_f64 v[88:89], v[123:124], -0.5, v[90:91]
	v_add_f64 v[108:109], v[121:122], -v[18:19]
	v_add_f64 v[96:97], v[119:120], -v[137:138]
	v_add_f64 v[86:87], v[117:118], v[86:87]
	v_fma_f64 v[8:9], v[127:128], s[0:1], v[115:116]
	v_add_f64 v[102:103], v[6:7], -v[12:13]
	v_fma_f64 v[76:77], v[76:77], -0.5, v[90:91]
	v_add_f64 v[113:114], v[111:112], -v[141:142]
	v_add_f64 v[117:118], v[137:138], -v[119:120]
	v_fma_f64 v[115:116], v[108:109], s[6:7], v[88:89]
	v_fma_f64 v[88:89], v[108:109], s[8:9], v[88:89]
	v_add_f64 v[123:124], v[141:142], -v[111:112]
	v_add_f64 v[86:87], v[86:87], v[105:106]
	v_add_f64 v[90:91], v[137:138], v[90:91]
	v_fma_f64 v[125:126], v[102:103], s[8:9], v[76:77]
	v_add_f64 v[104:105], v[96:97], v[113:114]
	v_fma_f64 v[76:77], v[102:103], s[6:7], v[76:77]
	v_fma_f64 v[106:107], v[102:103], s[2:3], v[115:116]
	;; [unrolled: 1-line block ×3, first 2 shown]
	v_add_f64 v[115:116], v[117:118], v[123:124]
	v_add_f64 v[123:124], v[6:7], v[12:13]
	;; [unrolled: 1-line block ×5, first 2 shown]
	v_fma_f64 v[117:118], v[108:109], s[2:3], v[125:126]
	v_fma_f64 v[88:89], v[104:105], s[0:1], v[106:107]
	;; [unrolled: 1-line block ×3, first 2 shown]
	v_add_f64 v[104:105], v[119:120], -v[111:112]
	v_fma_f64 v[100:101], v[123:124], -0.5, v[0:1]
	v_fma_f64 v[76:77], v[108:109], s[4:5], v[76:77]
	v_add_f64 v[108:109], v[137:138], -v[141:142]
	v_fma_f64 v[90:91], v[90:91], -0.5, v[0:1]
	v_add_f64 v[0:1], v[0:1], v[6:7]
	v_fma_f64 v[106:107], v[115:116], s[0:1], v[117:118]
	v_add_f64 v[86:87], v[111:112], v[86:87]
	v_add_f64 v[110:111], v[121:122], -v[6:7]
	v_add_f64 v[112:113], v[18:19], -v[12:13]
	v_fma_f64 v[117:118], v[104:105], s[8:9], v[100:101]
	v_fma_f64 v[100:101], v[104:105], s[6:7], v[100:101]
	;; [unrolled: 1-line block ×3, first 2 shown]
	v_add_f64 v[0:1], v[121:122], v[0:1]
	v_fma_f64 v[123:124], v[108:109], s[6:7], v[90:91]
	v_fma_f64 v[90:91], v[108:109], s[8:9], v[90:91]
	v_add_f64 v[6:7], v[6:7], -v[121:122]
	v_add_f64 v[119:120], v[12:13], -v[18:19]
	v_add_f64 v[112:113], v[110:111], v[112:113]
	v_fma_f64 v[117:118], v[108:109], s[4:5], v[117:118]
	v_fma_f64 v[100:101], v[108:109], s[2:3], v[100:101]
	v_add_f64 v[0:1], v[0:1], v[18:19]
	v_fma_f64 v[72:73], v[139:140], s[2:3], v[72:73]
	v_fma_f64 v[90:91], v[104:105], s[2:3], v[90:91]
	s_mov_b32 s2, 0xa01a01a1
	v_mul_hi_u32 v18, v154, s2
	v_fma_f64 v[110:111], v[115:116], s[0:1], v[76:77]
	v_add_f64 v[6:7], v[6:7], v[119:120]
	v_fma_f64 v[76:77], v[104:105], s[4:5], v[123:124]
	v_add_f64 v[114:115], v[141:142], v[86:87]
	v_fma_f64 v[86:87], v[112:113], s[0:1], v[117:118]
	v_fma_f64 v[100:101], v[112:113], s[0:1], v[100:101]
	v_add_f64 v[112:113], v[0:1], v[12:13]
	v_sub_u32_e32 v0, v154, v18
	v_lshrrev_b32_e32 v0, 1, v0
	v_add_u32_e32 v0, v0, v18
	v_lshrrev_b32_e32 v0, 8, v0
	v_mul_u32_u24_e32 v0, 0x13b, v0
	v_fma_f64 v[104:105], v[6:7], s[0:1], v[76:77]
	v_fma_f64 v[108:109], v[6:7], s[0:1], v[90:91]
	v_sub_u32_e32 v6, v154, v0
	v_lshlrev_b64 v[0:1], 4, v[84:85]
	v_mov_b32_e32 v7, s11
	v_add_co_u32_e32 v12, vcc, s10, v0
	v_addc_co_u32_e32 v7, vcc, v7, v1, vcc
	v_lshlrev_b64 v[0:1], 4, v[150:151]
	v_fma_f64 v[72:73], v[127:128], s[0:1], v[72:73]
	v_add_co_u32_e32 v12, vcc, v12, v0
	v_addc_co_u32_e32 v13, vcc, v7, v1, vcc
	v_lshlrev_b32_e32 v0, 4, v6
	v_add_co_u32_e32 v0, vcc, v12, v0
	v_addc_co_u32_e32 v1, vcc, 0, v13, vcc
	v_add_co_u32_e32 v6, vcc, s13, v0
	v_addc_co_u32_e32 v7, vcc, 0, v1, vcc
	global_store_dwordx4 v[6:7], v[108:111], off offset:944
	v_add_co_u32_e32 v6, vcc, s14, v0
	v_addc_co_u32_e32 v7, vcc, 0, v1, vcc
	s_movk_i32 s0, 0x3000
	global_store_dwordx4 v[6:7], v[100:103], off offset:1888
	v_add_co_u32_e32 v6, vcc, s0, v0
	v_addc_co_u32_e32 v7, vcc, 0, v1, vcc
	global_store_dwordx4 v[6:7], v[86:89], off offset:2832
	v_add_u32_e32 v6, 63, v154
	v_mul_hi_u32 v7, v6, s2
	s_movk_i32 s0, 0x4000
	global_store_dwordx4 v[0:1], v[112:115], off
	v_add_co_u32_e32 v0, vcc, s0, v0
	v_addc_co_u32_e32 v1, vcc, 0, v1, vcc
	global_store_dwordx4 v[0:1], v[104:107], off offset:3776
	v_sub_u32_e32 v0, v6, v7
	v_lshrrev_b32_e32 v0, 1, v0
	v_add_u32_e32 v0, v0, v7
	v_lshrrev_b32_e32 v0, 8, v0
	v_mul_u32_u24_e32 v1, 0x13b, v0
	v_sub_u32_e32 v1, v6, v1
	s_movk_i32 s0, 0x627
	v_mad_u32_u24 v82, v0, s0, v1
	v_lshlrev_b64 v[0:1], 4, v[82:83]
	v_add_co_u32_e32 v0, vcc, v12, v0
	v_addc_co_u32_e32 v1, vcc, v13, v1, vcc
	global_store_dwordx4 v[0:1], v[96:99], off
	v_add_u32_e32 v0, 0x13b, v82
	v_mov_b32_e32 v1, v83
	v_lshlrev_b64 v[0:1], 4, v[0:1]
	v_add_co_u32_e32 v0, vcc, v12, v0
	v_addc_co_u32_e32 v1, vcc, v13, v1, vcc
	global_store_dwordx4 v[0:1], v[72:75], off
	v_add_u32_e32 v0, 0x276, v82
	v_mov_b32_e32 v1, v83
	;; [unrolled: 6-line block ×3, first 2 shown]
	v_lshlrev_b64 v[0:1], 4, v[0:1]
	v_add_u32_e32 v82, 0x4ec, v82
	v_add_co_u32_e32 v0, vcc, v12, v0
	v_addc_co_u32_e32 v1, vcc, v13, v1, vcc
	v_add_u32_e32 v2, 0x7e, v154
	global_store_dwordx4 v[0:1], v[92:95], off
	v_lshlrev_b64 v[0:1], 4, v[82:83]
	v_mul_hi_u32 v3, v2, s2
	v_add_co_u32_e32 v0, vcc, v12, v0
	v_addc_co_u32_e32 v1, vcc, v13, v1, vcc
	global_store_dwordx4 v[0:1], v[8:11], off
	v_sub_u32_e32 v0, v2, v3
	v_lshrrev_b32_e32 v0, 1, v0
	v_add_u32_e32 v0, v0, v3
	v_lshrrev_b32_e32 v0, 8, v0
	v_mul_u32_u24_e32 v1, 0x13b, v0
	v_sub_u32_e32 v1, v2, v1
	v_mad_u32_u24 v82, v0, s0, v1
	v_lshlrev_b64 v[0:1], 4, v[82:83]
	v_add_u32_e32 v2, 0xbd, v154
	v_add_co_u32_e32 v0, vcc, v12, v0
	v_addc_co_u32_e32 v1, vcc, v13, v1, vcc
	global_store_dwordx4 v[0:1], v[44:47], off
	v_add_u32_e32 v0, 0x13b, v82
	v_mov_b32_e32 v1, v83
	v_lshlrev_b64 v[0:1], 4, v[0:1]
	v_mul_hi_u32 v3, v2, s2
	v_add_co_u32_e32 v0, vcc, v12, v0
	v_addc_co_u32_e32 v1, vcc, v13, v1, vcc
	global_store_dwordx4 v[0:1], v[32:35], off
	v_add_u32_e32 v0, 0x276, v82
	v_mov_b32_e32 v1, v83
	v_lshlrev_b64 v[0:1], 4, v[0:1]
	v_add_co_u32_e32 v0, vcc, v12, v0
	v_addc_co_u32_e32 v1, vcc, v13, v1, vcc
	global_store_dwordx4 v[0:1], v[28:31], off
	v_add_u32_e32 v0, 0x3b1, v82
	v_mov_b32_e32 v1, v83
	v_lshlrev_b64 v[0:1], 4, v[0:1]
	v_add_u32_e32 v82, 0x4ec, v82
	v_add_co_u32_e32 v0, vcc, v12, v0
	v_addc_co_u32_e32 v1, vcc, v13, v1, vcc
	global_store_dwordx4 v[0:1], v[78:81], off
	v_lshlrev_b64 v[0:1], 4, v[82:83]
	v_add_co_u32_e32 v0, vcc, v12, v0
	v_addc_co_u32_e32 v1, vcc, v13, v1, vcc
	global_store_dwordx4 v[0:1], v[14:17], off
	v_sub_u32_e32 v0, v2, v3
	v_lshrrev_b32_e32 v0, 1, v0
	v_add_u32_e32 v0, v0, v3
	v_lshrrev_b32_e32 v0, 8, v0
	v_mul_u32_u24_e32 v1, 0x13b, v0
	v_sub_u32_e32 v1, v2, v1
	v_mad_u32_u24 v82, v0, s0, v1
	v_lshlrev_b64 v[0:1], 4, v[82:83]
	v_add_u32_e32 v2, 0xfc, v154
	v_add_co_u32_e32 v0, vcc, v12, v0
	v_addc_co_u32_e32 v1, vcc, v13, v1, vcc
	global_store_dwordx4 v[0:1], v[68:71], off
	v_add_u32_e32 v0, 0x13b, v82
	v_mov_b32_e32 v1, v83
	v_lshlrev_b64 v[0:1], 4, v[0:1]
	v_mul_hi_u32 v3, v2, s2
	v_add_co_u32_e32 v0, vcc, v12, v0
	v_addc_co_u32_e32 v1, vcc, v13, v1, vcc
	global_store_dwordx4 v[0:1], v[64:67], off
	v_add_u32_e32 v0, 0x276, v82
	v_mov_b32_e32 v1, v83
	v_lshlrev_b64 v[0:1], 4, v[0:1]
	v_add_co_u32_e32 v0, vcc, v12, v0
	v_addc_co_u32_e32 v1, vcc, v13, v1, vcc
	global_store_dwordx4 v[0:1], v[60:63], off
	v_add_u32_e32 v0, 0x3b1, v82
	v_mov_b32_e32 v1, v83
	v_lshlrev_b64 v[0:1], 4, v[0:1]
	v_add_u32_e32 v82, 0x4ec, v82
	v_add_co_u32_e32 v0, vcc, v12, v0
	v_addc_co_u32_e32 v1, vcc, v13, v1, vcc
	global_store_dwordx4 v[0:1], v[56:59], off
	v_lshlrev_b64 v[0:1], 4, v[82:83]
	v_add_co_u32_e32 v0, vcc, v12, v0
	v_addc_co_u32_e32 v1, vcc, v13, v1, vcc
	global_store_dwordx4 v[0:1], v[52:55], off
	v_sub_u32_e32 v0, v2, v3
	v_lshrrev_b32_e32 v0, 1, v0
	v_add_u32_e32 v0, v0, v3
	v_lshrrev_b32_e32 v0, 8, v0
	v_mul_u32_u24_e32 v1, 0x13b, v0
	v_sub_u32_e32 v1, v2, v1
	v_mad_u32_u24 v82, v0, s0, v1
	v_lshlrev_b64 v[0:1], 4, v[82:83]
	v_add_co_u32_e32 v0, vcc, v12, v0
	v_addc_co_u32_e32 v1, vcc, v13, v1, vcc
	global_store_dwordx4 v[0:1], v[48:51], off
	v_add_u32_e32 v0, 0x13b, v82
	v_mov_b32_e32 v1, v83
	v_lshlrev_b64 v[0:1], 4, v[0:1]
	v_add_co_u32_e32 v0, vcc, v12, v0
	v_addc_co_u32_e32 v1, vcc, v13, v1, vcc
	global_store_dwordx4 v[0:1], v[40:43], off
	v_add_u32_e32 v0, 0x276, v82
	v_mov_b32_e32 v1, v83
	;; [unrolled: 6-line block ×3, first 2 shown]
	v_lshlrev_b64 v[0:1], 4, v[0:1]
	v_add_u32_e32 v82, 0x4ec, v82
	v_add_co_u32_e32 v0, vcc, v12, v0
	v_addc_co_u32_e32 v1, vcc, v13, v1, vcc
	global_store_dwordx4 v[0:1], v[24:27], off
	v_lshlrev_b64 v[0:1], 4, v[82:83]
	v_add_co_u32_e32 v0, vcc, v12, v0
	v_addc_co_u32_e32 v1, vcc, v13, v1, vcc
	global_store_dwordx4 v[0:1], v[20:23], off
.LBB0_37:
	s_endpgm
	.section	.rodata,"a",@progbits
	.p2align	6, 0x0
	.amdhsa_kernel fft_rtc_fwd_len1575_factors_3_3_5_7_5_wgs_63_tpt_63_halfLds_dp_op_CI_CI_unitstride_sbrr_dirReg
		.amdhsa_group_segment_fixed_size 0
		.amdhsa_private_segment_fixed_size 0
		.amdhsa_kernarg_size 104
		.amdhsa_user_sgpr_count 6
		.amdhsa_user_sgpr_private_segment_buffer 1
		.amdhsa_user_sgpr_dispatch_ptr 0
		.amdhsa_user_sgpr_queue_ptr 0
		.amdhsa_user_sgpr_kernarg_segment_ptr 1
		.amdhsa_user_sgpr_dispatch_id 0
		.amdhsa_user_sgpr_flat_scratch_init 0
		.amdhsa_user_sgpr_private_segment_size 0
		.amdhsa_uses_dynamic_stack 0
		.amdhsa_system_sgpr_private_segment_wavefront_offset 0
		.amdhsa_system_sgpr_workgroup_id_x 1
		.amdhsa_system_sgpr_workgroup_id_y 0
		.amdhsa_system_sgpr_workgroup_id_z 0
		.amdhsa_system_sgpr_workgroup_info 0
		.amdhsa_system_vgpr_workitem_id 0
		.amdhsa_next_free_vgpr 253
		.amdhsa_next_free_sgpr 30
		.amdhsa_reserve_vcc 1
		.amdhsa_reserve_flat_scratch 0
		.amdhsa_float_round_mode_32 0
		.amdhsa_float_round_mode_16_64 0
		.amdhsa_float_denorm_mode_32 3
		.amdhsa_float_denorm_mode_16_64 3
		.amdhsa_dx10_clamp 1
		.amdhsa_ieee_mode 1
		.amdhsa_fp16_overflow 0
		.amdhsa_exception_fp_ieee_invalid_op 0
		.amdhsa_exception_fp_denorm_src 0
		.amdhsa_exception_fp_ieee_div_zero 0
		.amdhsa_exception_fp_ieee_overflow 0
		.amdhsa_exception_fp_ieee_underflow 0
		.amdhsa_exception_fp_ieee_inexact 0
		.amdhsa_exception_int_div_zero 0
	.end_amdhsa_kernel
	.text
.Lfunc_end0:
	.size	fft_rtc_fwd_len1575_factors_3_3_5_7_5_wgs_63_tpt_63_halfLds_dp_op_CI_CI_unitstride_sbrr_dirReg, .Lfunc_end0-fft_rtc_fwd_len1575_factors_3_3_5_7_5_wgs_63_tpt_63_halfLds_dp_op_CI_CI_unitstride_sbrr_dirReg
                                        ; -- End function
	.section	.AMDGPU.csdata,"",@progbits
; Kernel info:
; codeLenInByte = 19996
; NumSgprs: 34
; NumVgprs: 253
; ScratchSize: 0
; MemoryBound: 1
; FloatMode: 240
; IeeeMode: 1
; LDSByteSize: 0 bytes/workgroup (compile time only)
; SGPRBlocks: 4
; VGPRBlocks: 63
; NumSGPRsForWavesPerEU: 34
; NumVGPRsForWavesPerEU: 253
; Occupancy: 1
; WaveLimiterHint : 1
; COMPUTE_PGM_RSRC2:SCRATCH_EN: 0
; COMPUTE_PGM_RSRC2:USER_SGPR: 6
; COMPUTE_PGM_RSRC2:TRAP_HANDLER: 0
; COMPUTE_PGM_RSRC2:TGID_X_EN: 1
; COMPUTE_PGM_RSRC2:TGID_Y_EN: 0
; COMPUTE_PGM_RSRC2:TGID_Z_EN: 0
; COMPUTE_PGM_RSRC2:TIDIG_COMP_CNT: 0
	.type	__hip_cuid_ba6e37e14be36b0,@object ; @__hip_cuid_ba6e37e14be36b0
	.section	.bss,"aw",@nobits
	.globl	__hip_cuid_ba6e37e14be36b0
__hip_cuid_ba6e37e14be36b0:
	.byte	0                               ; 0x0
	.size	__hip_cuid_ba6e37e14be36b0, 1

	.ident	"AMD clang version 19.0.0git (https://github.com/RadeonOpenCompute/llvm-project roc-6.4.0 25133 c7fe45cf4b819c5991fe208aaa96edf142730f1d)"
	.section	".note.GNU-stack","",@progbits
	.addrsig
	.addrsig_sym __hip_cuid_ba6e37e14be36b0
	.amdgpu_metadata
---
amdhsa.kernels:
  - .args:
      - .actual_access:  read_only
        .address_space:  global
        .offset:         0
        .size:           8
        .value_kind:     global_buffer
      - .offset:         8
        .size:           8
        .value_kind:     by_value
      - .actual_access:  read_only
        .address_space:  global
        .offset:         16
        .size:           8
        .value_kind:     global_buffer
      - .actual_access:  read_only
        .address_space:  global
        .offset:         24
        .size:           8
        .value_kind:     global_buffer
      - .actual_access:  read_only
        .address_space:  global
        .offset:         32
        .size:           8
        .value_kind:     global_buffer
      - .offset:         40
        .size:           8
        .value_kind:     by_value
      - .actual_access:  read_only
        .address_space:  global
        .offset:         48
        .size:           8
        .value_kind:     global_buffer
      - .actual_access:  read_only
        .address_space:  global
        .offset:         56
        .size:           8
        .value_kind:     global_buffer
      - .offset:         64
        .size:           4
        .value_kind:     by_value
      - .actual_access:  read_only
        .address_space:  global
        .offset:         72
        .size:           8
        .value_kind:     global_buffer
      - .actual_access:  read_only
        .address_space:  global
        .offset:         80
        .size:           8
        .value_kind:     global_buffer
      - .actual_access:  read_only
        .address_space:  global
        .offset:         88
        .size:           8
        .value_kind:     global_buffer
      - .actual_access:  write_only
        .address_space:  global
        .offset:         96
        .size:           8
        .value_kind:     global_buffer
    .group_segment_fixed_size: 0
    .kernarg_segment_align: 8
    .kernarg_segment_size: 104
    .language:       OpenCL C
    .language_version:
      - 2
      - 0
    .max_flat_workgroup_size: 63
    .name:           fft_rtc_fwd_len1575_factors_3_3_5_7_5_wgs_63_tpt_63_halfLds_dp_op_CI_CI_unitstride_sbrr_dirReg
    .private_segment_fixed_size: 0
    .sgpr_count:     34
    .sgpr_spill_count: 0
    .symbol:         fft_rtc_fwd_len1575_factors_3_3_5_7_5_wgs_63_tpt_63_halfLds_dp_op_CI_CI_unitstride_sbrr_dirReg.kd
    .uniform_work_group_size: 1
    .uses_dynamic_stack: false
    .vgpr_count:     253
    .vgpr_spill_count: 0
    .wavefront_size: 64
amdhsa.target:   amdgcn-amd-amdhsa--gfx906
amdhsa.version:
  - 1
  - 2
...

	.end_amdgpu_metadata
